;; amdgpu-corpus repo=ROCm/rocFFT kind=compiled arch=gfx1201 opt=O3
	.text
	.amdgcn_target "amdgcn-amd-amdhsa--gfx1201"
	.amdhsa_code_object_version 6
	.protected	fft_rtc_fwd_len1155_factors_11_5_7_3_wgs_55_tpt_55_halfLds_half_ip_CI_unitstride_sbrr_dirReg ; -- Begin function fft_rtc_fwd_len1155_factors_11_5_7_3_wgs_55_tpt_55_halfLds_half_ip_CI_unitstride_sbrr_dirReg
	.globl	fft_rtc_fwd_len1155_factors_11_5_7_3_wgs_55_tpt_55_halfLds_half_ip_CI_unitstride_sbrr_dirReg
	.p2align	8
	.type	fft_rtc_fwd_len1155_factors_11_5_7_3_wgs_55_tpt_55_halfLds_half_ip_CI_unitstride_sbrr_dirReg,@function
fft_rtc_fwd_len1155_factors_11_5_7_3_wgs_55_tpt_55_halfLds_half_ip_CI_unitstride_sbrr_dirReg: ; @fft_rtc_fwd_len1155_factors_11_5_7_3_wgs_55_tpt_55_halfLds_half_ip_CI_unitstride_sbrr_dirReg
; %bb.0:
	s_clause 0x2
	s_load_b128 s[4:7], s[0:1], 0x0
	s_load_b64 s[8:9], s[0:1], 0x50
	s_load_b64 s[10:11], s[0:1], 0x18
	v_mul_u32_u24_e32 v1, 0x4a8, v0
	v_mov_b32_e32 v3, 0
	s_delay_alu instid0(VALU_DEP_2) | instskip(NEXT) | instid1(VALU_DEP_1)
	v_lshrrev_b32_e32 v1, 16, v1
	v_add_nc_u32_e32 v5, ttmp9, v1
	v_mov_b32_e32 v1, 0
	v_mov_b32_e32 v2, 0
	;; [unrolled: 1-line block ×3, first 2 shown]
	s_wait_kmcnt 0x0
	v_cmp_lt_u64_e64 s2, s[6:7], 2
	s_delay_alu instid0(VALU_DEP_1)
	s_and_b32 vcc_lo, exec_lo, s2
	s_cbranch_vccnz .LBB0_8
; %bb.1:
	s_load_b64 s[2:3], s[0:1], 0x10
	v_mov_b32_e32 v1, 0
	v_mov_b32_e32 v2, 0
	s_add_nc_u64 s[12:13], s[10:11], 8
	s_mov_b64 s[14:15], 1
	s_wait_kmcnt 0x0
	s_add_nc_u64 s[16:17], s[2:3], 8
	s_mov_b32 s3, 0
.LBB0_2:                                ; =>This Inner Loop Header: Depth=1
	s_load_b64 s[18:19], s[16:17], 0x0
                                        ; implicit-def: $vgpr7_vgpr8
	s_mov_b32 s2, exec_lo
	s_wait_kmcnt 0x0
	v_or_b32_e32 v4, s19, v6
	s_delay_alu instid0(VALU_DEP_1)
	v_cmpx_ne_u64_e32 0, v[3:4]
	s_wait_alu 0xfffe
	s_xor_b32 s20, exec_lo, s2
	s_cbranch_execz .LBB0_4
; %bb.3:                                ;   in Loop: Header=BB0_2 Depth=1
	s_cvt_f32_u32 s2, s18
	s_cvt_f32_u32 s21, s19
	s_sub_nc_u64 s[24:25], 0, s[18:19]
	s_wait_alu 0xfffe
	s_delay_alu instid0(SALU_CYCLE_1) | instskip(SKIP_1) | instid1(SALU_CYCLE_2)
	s_fmamk_f32 s2, s21, 0x4f800000, s2
	s_wait_alu 0xfffe
	v_s_rcp_f32 s2, s2
	s_delay_alu instid0(TRANS32_DEP_1) | instskip(SKIP_1) | instid1(SALU_CYCLE_2)
	s_mul_f32 s2, s2, 0x5f7ffffc
	s_wait_alu 0xfffe
	s_mul_f32 s21, s2, 0x2f800000
	s_wait_alu 0xfffe
	s_delay_alu instid0(SALU_CYCLE_2) | instskip(SKIP_1) | instid1(SALU_CYCLE_2)
	s_trunc_f32 s21, s21
	s_wait_alu 0xfffe
	s_fmamk_f32 s2, s21, 0xcf800000, s2
	s_cvt_u32_f32 s23, s21
	s_wait_alu 0xfffe
	s_delay_alu instid0(SALU_CYCLE_1) | instskip(SKIP_1) | instid1(SALU_CYCLE_2)
	s_cvt_u32_f32 s22, s2
	s_wait_alu 0xfffe
	s_mul_u64 s[26:27], s[24:25], s[22:23]
	s_wait_alu 0xfffe
	s_mul_hi_u32 s29, s22, s27
	s_mul_i32 s28, s22, s27
	s_mul_hi_u32 s2, s22, s26
	s_mul_i32 s30, s23, s26
	s_wait_alu 0xfffe
	s_add_nc_u64 s[28:29], s[2:3], s[28:29]
	s_mul_hi_u32 s21, s23, s26
	s_mul_hi_u32 s31, s23, s27
	s_add_co_u32 s2, s28, s30
	s_wait_alu 0xfffe
	s_add_co_ci_u32 s2, s29, s21
	s_mul_i32 s26, s23, s27
	s_add_co_ci_u32 s27, s31, 0
	s_wait_alu 0xfffe
	s_add_nc_u64 s[26:27], s[2:3], s[26:27]
	s_wait_alu 0xfffe
	v_add_co_u32 v4, s2, s22, s26
	s_delay_alu instid0(VALU_DEP_1) | instskip(SKIP_1) | instid1(VALU_DEP_1)
	s_cmp_lg_u32 s2, 0
	s_add_co_ci_u32 s23, s23, s27
	v_readfirstlane_b32 s22, v4
	s_wait_alu 0xfffe
	s_delay_alu instid0(VALU_DEP_1)
	s_mul_u64 s[24:25], s[24:25], s[22:23]
	s_wait_alu 0xfffe
	s_mul_hi_u32 s27, s22, s25
	s_mul_i32 s26, s22, s25
	s_mul_hi_u32 s2, s22, s24
	s_mul_i32 s28, s23, s24
	s_wait_alu 0xfffe
	s_add_nc_u64 s[26:27], s[2:3], s[26:27]
	s_mul_hi_u32 s21, s23, s24
	s_mul_hi_u32 s22, s23, s25
	s_wait_alu 0xfffe
	s_add_co_u32 s2, s26, s28
	s_add_co_ci_u32 s2, s27, s21
	s_mul_i32 s24, s23, s25
	s_add_co_ci_u32 s25, s22, 0
	s_wait_alu 0xfffe
	s_add_nc_u64 s[24:25], s[2:3], s[24:25]
	s_wait_alu 0xfffe
	v_add_co_u32 v4, s2, v4, s24
	s_delay_alu instid0(VALU_DEP_1) | instskip(SKIP_1) | instid1(VALU_DEP_1)
	s_cmp_lg_u32 s2, 0
	s_add_co_ci_u32 s2, s23, s25
	v_mul_hi_u32 v13, v5, v4
	s_wait_alu 0xfffe
	v_mad_co_u64_u32 v[7:8], null, v5, s2, 0
	v_mad_co_u64_u32 v[9:10], null, v6, v4, 0
	;; [unrolled: 1-line block ×3, first 2 shown]
	s_delay_alu instid0(VALU_DEP_3) | instskip(SKIP_1) | instid1(VALU_DEP_4)
	v_add_co_u32 v4, vcc_lo, v13, v7
	s_wait_alu 0xfffd
	v_add_co_ci_u32_e32 v7, vcc_lo, 0, v8, vcc_lo
	s_delay_alu instid0(VALU_DEP_2) | instskip(SKIP_1) | instid1(VALU_DEP_2)
	v_add_co_u32 v4, vcc_lo, v4, v9
	s_wait_alu 0xfffd
	v_add_co_ci_u32_e32 v4, vcc_lo, v7, v10, vcc_lo
	s_wait_alu 0xfffd
	v_add_co_ci_u32_e32 v7, vcc_lo, 0, v12, vcc_lo
	s_delay_alu instid0(VALU_DEP_2) | instskip(SKIP_1) | instid1(VALU_DEP_2)
	v_add_co_u32 v4, vcc_lo, v4, v11
	s_wait_alu 0xfffd
	v_add_co_ci_u32_e32 v9, vcc_lo, 0, v7, vcc_lo
	s_delay_alu instid0(VALU_DEP_2) | instskip(SKIP_1) | instid1(VALU_DEP_3)
	v_mul_lo_u32 v10, s19, v4
	v_mad_co_u64_u32 v[7:8], null, s18, v4, 0
	v_mul_lo_u32 v11, s18, v9
	s_delay_alu instid0(VALU_DEP_2) | instskip(NEXT) | instid1(VALU_DEP_2)
	v_sub_co_u32 v7, vcc_lo, v5, v7
	v_add3_u32 v8, v8, v11, v10
	s_delay_alu instid0(VALU_DEP_1) | instskip(SKIP_1) | instid1(VALU_DEP_1)
	v_sub_nc_u32_e32 v10, v6, v8
	s_wait_alu 0xfffd
	v_subrev_co_ci_u32_e64 v10, s2, s19, v10, vcc_lo
	v_add_co_u32 v11, s2, v4, 2
	s_wait_alu 0xf1ff
	v_add_co_ci_u32_e64 v12, s2, 0, v9, s2
	v_sub_co_u32 v13, s2, v7, s18
	v_sub_co_ci_u32_e32 v8, vcc_lo, v6, v8, vcc_lo
	s_wait_alu 0xf1ff
	v_subrev_co_ci_u32_e64 v10, s2, 0, v10, s2
	s_delay_alu instid0(VALU_DEP_3) | instskip(NEXT) | instid1(VALU_DEP_3)
	v_cmp_le_u32_e32 vcc_lo, s18, v13
	v_cmp_eq_u32_e64 s2, s19, v8
	s_wait_alu 0xfffd
	v_cndmask_b32_e64 v13, 0, -1, vcc_lo
	v_cmp_le_u32_e32 vcc_lo, s19, v10
	s_wait_alu 0xfffd
	v_cndmask_b32_e64 v14, 0, -1, vcc_lo
	v_cmp_le_u32_e32 vcc_lo, s18, v7
	;; [unrolled: 3-line block ×3, first 2 shown]
	s_wait_alu 0xfffd
	v_cndmask_b32_e64 v15, 0, -1, vcc_lo
	v_cmp_eq_u32_e32 vcc_lo, s19, v10
	s_wait_alu 0xf1ff
	s_delay_alu instid0(VALU_DEP_2)
	v_cndmask_b32_e64 v7, v15, v7, s2
	s_wait_alu 0xfffd
	v_cndmask_b32_e32 v10, v14, v13, vcc_lo
	v_add_co_u32 v13, vcc_lo, v4, 1
	s_wait_alu 0xfffd
	v_add_co_ci_u32_e32 v14, vcc_lo, 0, v9, vcc_lo
	s_delay_alu instid0(VALU_DEP_3) | instskip(SKIP_2) | instid1(VALU_DEP_3)
	v_cmp_ne_u32_e32 vcc_lo, 0, v10
	s_wait_alu 0xfffd
	v_cndmask_b32_e32 v10, v13, v11, vcc_lo
	v_cndmask_b32_e32 v8, v14, v12, vcc_lo
	v_cmp_ne_u32_e32 vcc_lo, 0, v7
	s_wait_alu 0xfffd
	s_delay_alu instid0(VALU_DEP_2)
	v_dual_cndmask_b32 v7, v4, v10 :: v_dual_cndmask_b32 v8, v9, v8
.LBB0_4:                                ;   in Loop: Header=BB0_2 Depth=1
	s_wait_alu 0xfffe
	s_and_not1_saveexec_b32 s2, s20
	s_cbranch_execz .LBB0_6
; %bb.5:                                ;   in Loop: Header=BB0_2 Depth=1
	v_cvt_f32_u32_e32 v4, s18
	s_sub_co_i32 s20, 0, s18
	s_delay_alu instid0(VALU_DEP_1) | instskip(NEXT) | instid1(TRANS32_DEP_1)
	v_rcp_iflag_f32_e32 v4, v4
	v_mul_f32_e32 v4, 0x4f7ffffe, v4
	s_delay_alu instid0(VALU_DEP_1) | instskip(SKIP_1) | instid1(VALU_DEP_1)
	v_cvt_u32_f32_e32 v4, v4
	s_wait_alu 0xfffe
	v_mul_lo_u32 v7, s20, v4
	s_delay_alu instid0(VALU_DEP_1) | instskip(NEXT) | instid1(VALU_DEP_1)
	v_mul_hi_u32 v7, v4, v7
	v_add_nc_u32_e32 v4, v4, v7
	s_delay_alu instid0(VALU_DEP_1) | instskip(NEXT) | instid1(VALU_DEP_1)
	v_mul_hi_u32 v4, v5, v4
	v_mul_lo_u32 v7, v4, s18
	v_add_nc_u32_e32 v8, 1, v4
	s_delay_alu instid0(VALU_DEP_2) | instskip(NEXT) | instid1(VALU_DEP_1)
	v_sub_nc_u32_e32 v7, v5, v7
	v_subrev_nc_u32_e32 v9, s18, v7
	v_cmp_le_u32_e32 vcc_lo, s18, v7
	s_wait_alu 0xfffd
	s_delay_alu instid0(VALU_DEP_2) | instskip(NEXT) | instid1(VALU_DEP_1)
	v_dual_cndmask_b32 v7, v7, v9 :: v_dual_cndmask_b32 v4, v4, v8
	v_cmp_le_u32_e32 vcc_lo, s18, v7
	s_delay_alu instid0(VALU_DEP_2) | instskip(SKIP_1) | instid1(VALU_DEP_1)
	v_add_nc_u32_e32 v8, 1, v4
	s_wait_alu 0xfffd
	v_dual_cndmask_b32 v7, v4, v8 :: v_dual_mov_b32 v8, v3
.LBB0_6:                                ;   in Loop: Header=BB0_2 Depth=1
	s_wait_alu 0xfffe
	s_or_b32 exec_lo, exec_lo, s2
	s_load_b64 s[20:21], s[12:13], 0x0
	s_delay_alu instid0(VALU_DEP_1)
	v_mul_lo_u32 v4, v8, s18
	v_mul_lo_u32 v11, v7, s19
	v_mad_co_u64_u32 v[9:10], null, v7, s18, 0
	s_add_nc_u64 s[14:15], s[14:15], 1
	s_add_nc_u64 s[12:13], s[12:13], 8
	s_wait_alu 0xfffe
	v_cmp_ge_u64_e64 s2, s[14:15], s[6:7]
	s_add_nc_u64 s[16:17], s[16:17], 8
	s_delay_alu instid0(VALU_DEP_2) | instskip(NEXT) | instid1(VALU_DEP_3)
	v_add3_u32 v4, v10, v11, v4
	v_sub_co_u32 v5, vcc_lo, v5, v9
	s_wait_alu 0xfffd
	s_delay_alu instid0(VALU_DEP_2) | instskip(SKIP_3) | instid1(VALU_DEP_2)
	v_sub_co_ci_u32_e32 v4, vcc_lo, v6, v4, vcc_lo
	s_and_b32 vcc_lo, exec_lo, s2
	s_wait_kmcnt 0x0
	v_mul_lo_u32 v6, s21, v5
	v_mul_lo_u32 v4, s20, v4
	v_mad_co_u64_u32 v[1:2], null, s20, v5, v[1:2]
	s_delay_alu instid0(VALU_DEP_1)
	v_add3_u32 v2, v6, v2, v4
	s_wait_alu 0xfffe
	s_cbranch_vccnz .LBB0_9
; %bb.7:                                ;   in Loop: Header=BB0_2 Depth=1
	v_dual_mov_b32 v5, v7 :: v_dual_mov_b32 v6, v8
	s_branch .LBB0_2
.LBB0_8:
	v_dual_mov_b32 v8, v6 :: v_dual_mov_b32 v7, v5
.LBB0_9:
	s_lshl_b64 s[2:3], s[6:7], 3
	v_mul_hi_u32 v5, 0x4a7904b, v0
	s_wait_alu 0xfffe
	s_add_nc_u64 s[2:3], s[10:11], s[2:3]
                                        ; implicit-def: $vgpr68
                                        ; implicit-def: $vgpr55
                                        ; implicit-def: $vgpr67
                                        ; implicit-def: $vgpr53
                                        ; implicit-def: $vgpr66
                                        ; implicit-def: $vgpr52
                                        ; implicit-def: $vgpr65
                                        ; implicit-def: $vgpr51
                                        ; implicit-def: $vgpr59
                                        ; implicit-def: $vgpr49
                                        ; implicit-def: $vgpr62
                                        ; implicit-def: $vgpr54
                                        ; implicit-def: $vgpr61
                                        ; implicit-def: $vgpr56
                                        ; implicit-def: $vgpr60
                                        ; implicit-def: $vgpr57
                                        ; implicit-def: $vgpr39
                                        ; implicit-def: $vgpr44
                                        ; implicit-def: $vgpr38
                                        ; implicit-def: $vgpr42
                                        ; implicit-def: $vgpr31
                                        ; implicit-def: $vgpr41
                                        ; implicit-def: $vgpr17
                                        ; implicit-def: $vgpr40
                                        ; implicit-def: $vgpr16
                                        ; implicit-def: $vgpr15
                                        ; implicit-def: $vgpr43
                                        ; implicit-def: $vgpr10
                                        ; implicit-def: $vgpr48
                                        ; implicit-def: $vgpr11
                                        ; implicit-def: $vgpr47
                                        ; implicit-def: $vgpr14
                                        ; implicit-def: $vgpr46
                                        ; implicit-def: $vgpr45
                                        ; implicit-def: $vgpr64
                                        ; implicit-def: $vgpr58
                                        ; implicit-def: $vgpr63
                                        ; implicit-def: $vgpr50
	s_load_b64 s[2:3], s[2:3], 0x0
	s_load_b64 s[0:1], s[0:1], 0x20
	s_wait_kmcnt 0x0
	v_mul_lo_u32 v6, s2, v8
	v_mul_lo_u32 v9, s3, v7
	v_mad_co_u64_u32 v[3:4], null, s2, v7, v[1:2]
	v_mul_u32_u24_e32 v1, 55, v5
	v_cmp_gt_u64_e32 vcc_lo, s[0:1], v[7:8]
	v_dual_mov_b32 v2, 0 :: v_dual_mov_b32 v7, 0
	s_delay_alu instid0(VALU_DEP_4) | instskip(NEXT) | instid1(VALU_DEP_4)
	v_add3_u32 v4, v9, v4, v6
	v_sub_nc_u32_e32 v6, v0, v1
                                        ; implicit-def: $vgpr1
                                        ; implicit-def: $vgpr9
	s_delay_alu instid0(VALU_DEP_2)
	v_lshlrev_b64_e32 v[4:5], 2, v[3:4]
                                        ; implicit-def: $vgpr3
	s_and_saveexec_b32 s1, vcc_lo
	s_cbranch_execz .LBB0_13
; %bb.10:
	v_mov_b32_e32 v7, 0
	s_delay_alu instid0(VALU_DEP_2) | instskip(SKIP_2) | instid1(VALU_DEP_3)
	v_add_co_u32 v2, s0, s8, v4
	s_wait_alu 0xf1ff
	v_add_co_ci_u32_e64 v3, s0, s9, v5, s0
	v_lshlrev_b64_e32 v[0:1], 2, v[6:7]
                                        ; implicit-def: $vgpr45
                                        ; implicit-def: $vgpr46
                                        ; implicit-def: $vgpr14
                                        ; implicit-def: $vgpr47
                                        ; implicit-def: $vgpr11
                                        ; implicit-def: $vgpr48
                                        ; implicit-def: $vgpr10
                                        ; implicit-def: $vgpr43
                                        ; implicit-def: $vgpr15
                                        ; implicit-def: $vgpr9
                                        ; implicit-def: $vgpr16
                                        ; implicit-def: $vgpr40
                                        ; implicit-def: $vgpr17
                                        ; implicit-def: $vgpr41
                                        ; implicit-def: $vgpr31
                                        ; implicit-def: $vgpr42
                                        ; implicit-def: $vgpr38
                                        ; implicit-def: $vgpr44
                                        ; implicit-def: $vgpr39
	s_delay_alu instid0(VALU_DEP_1) | instskip(SKIP_1) | instid1(VALU_DEP_2)
	v_add_co_u32 v0, s0, v2, v0
	s_wait_alu 0xf1ff
	v_add_co_ci_u32_e64 v1, s0, v3, v1, s0
	v_cmp_gt_u32_e64 s0, 50, v6
	v_mov_b32_e32 v2, v7
	s_clause 0xa
	global_load_b32 v3, v[0:1], off
	global_load_b32 v55, v[0:1], off offset:420
	global_load_b32 v53, v[0:1], off offset:840
	;; [unrolled: 1-line block ×10, first 2 shown]
	s_and_saveexec_b32 s2, s0
	s_cbranch_execz .LBB0_12
; %bb.11:
	s_clause 0xa
	global_load_b32 v2, v[0:1], off offset:220
	global_load_b32 v44, v[0:1], off offset:640
	;; [unrolled: 1-line block ×11, first 2 shown]
	s_wait_loadcnt 0x9
	v_lshrrev_b32_e32 v39, 16, v44
	s_wait_loadcnt 0x8
	v_lshrrev_b32_e32 v38, 16, v42
	;; [unrolled: 2-line block ×9, first 2 shown]
	s_wait_loadcnt 0x0
	v_perm_b32 v7, v2, v45, 0x7060302
.LBB0_12:
	s_wait_alu 0xfffe
	s_or_b32 exec_lo, exec_lo, s2
	s_wait_loadcnt 0xa
	v_lshrrev_b32_e32 v1, 16, v3
	s_wait_loadcnt 0x9
	v_lshrrev_b32_e32 v68, 16, v55
	;; [unrolled: 2-line block ×11, first 2 shown]
.LBB0_13:
	s_wait_alu 0xfffe
	s_or_b32 exec_lo, exec_lo, s1
	v_add_f16_e32 v0, v3, v55
	s_delay_alu instid0(VALU_DEP_2)
	v_sub_f16_e32 v32, v68, v64
	v_add_f16_e32 v30, v58, v55
	v_sub_f16_e32 v34, v67, v60
	v_add_f16_e32 v33, v53, v57
	v_add_f16_e32 v0, v0, v53
	v_mul_f16_e32 v73, 0xb482, v32
	v_sub_f16_e32 v36, v66, v61
	v_mul_f16_e32 v76, 0x3853, v34
	v_add_f16_e32 v35, v52, v56
	v_add_f16_e32 v0, v0, v52
	v_fma_f16 v8, v30, 0xbbad, -v73
	v_sub_f16_e32 v70, v65, v62
	v_add_f16_e32 v22, v44, v48
	v_mul_f16_e32 v78, 0xba0c, v36
	v_add_f16_e32 v0, v0, v51
	v_fma_f16 v12, v33, 0x3abb, -v76
	v_add_f16_e32 v8, v8, v3
	v_add_f16_e32 v37, v51, v54
	v_sub_f16_e32 v72, v59, v63
	v_add_f16_e32 v0, v0, v49
	v_sub_f16_e32 v24, v39, v10
	v_add_f16_e32 v21, v42, v47
	v_mul_f16_e32 v80, 0x3b47, v70
	v_fma_f16 v13, v35, 0xb93d, -v78
	v_add_f16_e32 v0, v0, v50
	v_add_f16_e32 v8, v12, v8
	v_pk_mul_f16 v18, 0x3abb36a6, v22 op_sel_hi:[1,0]
	v_add_f16_e32 v71, v50, v49
	v_sub_f16_e32 v23, v38, v11
	v_add_f16_e32 v0, v0, v54
	v_add_f16_e32 v20, v41, v46
	v_fma_f16 v12, v37, 0x36a6, -v80
	v_add_f16_e32 v8, v13, v8
	v_mul_f16_e32 v82, 0xbbeb, v72
	v_add_f16_e32 v0, v0, v56
	v_pk_fma_f16 v13, 0xb853bb47, v24, v18 op_sel_hi:[1,0,1]
	v_pk_mul_f16 v19, 0x36a6b93d, v21 op_sel_hi:[1,0]
	v_add_f16_e32 v8, v12, v8
	v_sub_f16_e32 v27, v31, v14
	v_add_f16_e32 v0, v0, v57
	v_add_f16_e32 v26, v40, v43
	v_pk_fma_f16 v12, 0xbb47ba0c, v23, v19 op_sel_hi:[1,0,1]
	v_fma_f16 v25, v71, 0xb08e, -v82
	v_sub_f16_e32 v28, v17, v15
	v_add_f16_e32 v83, v58, v0
	v_pk_add_f16 v0, v2, v13 op_sel_hi:[0,1]
	v_pk_mul_f16 v13, 0xb08ebbad, v20 op_sel_hi:[1,0]
	v_add_f16_e32 v84, v25, v8
	v_add_f16_e32 v25, v9, v45
	v_pk_mul_f16 v69, 0xbb47b853, v32 op_sel_hi:[1,0]
	v_pk_add_f16 v0, v0, v12
	v_pk_fma_f16 v29, 0xbbeb3482, v27, v13 op_sel_hi:[1,0,1]
	v_pk_mul_f16 v12, 0xb93db08e, v26 op_sel_hi:[1,0]
	v_pk_mul_f16 v8, 0xbbad3abb, v25 op_sel_hi:[1,0]
	v_fmamk_f16 v86, v30, 0x3abb, v69
	v_pk_mul_f16 v87, 0xba0cbb47, v34 op_sel_hi:[1,0]
	v_pk_add_f16 v0, v0, v29
	v_pk_fma_f16 v85, 0xba0c3beb, v28, v12 op_sel_hi:[1,0,1]
	v_sub_f16_e32 v29, v16, v7
	v_pk_fma_f16 v69, 0x36a63abb, v30, v69 op_sel_hi:[1,0,1] neg_lo:[0,0,1] neg_hi:[0,0,1]
	v_add_f16_e32 v86, v86, v3
	v_fmamk_f16 v88, v33, 0x36a6, v87
	v_pk_add_f16 v0, v85, v0
	v_pk_fma_f16 v85, 0xb4823853, v29, v8 op_sel_hi:[1,0,1]
	v_pk_mul_f16 v89, 0x3482bbeb, v36 op_sel_hi:[1,0]
	v_pk_add_f16 v69, v69, v3 op_sel_hi:[1,0]
	v_pk_fma_f16 v87, 0xb93d36a6, v33, v87 op_sel_hi:[1,0,1] neg_lo:[0,0,1] neg_hi:[0,0,1]
	v_pk_mul_f16 v90, 0xba0cbbeb, v32 op_sel_hi:[1,0]
	v_pk_add_f16 v0, v0, v85
	v_add_f16_e32 v85, v88, v86
	v_fmamk_f16 v86, v35, 0xb08e, v89
	v_pk_add_f16 v87, v87, v69
	v_pk_fma_f16 v89, 0xbbadb08e, v35, v89 op_sel_hi:[1,0,1] neg_lo:[0,0,1] neg_hi:[0,0,1]
	v_mul_f16_e32 v74, 0xbbad, v30
	v_pk_mul_f16 v91, 0x3beb3482, v34 op_sel_hi:[1,0]
	v_pk_mul_f16 v94, 0xb93db08e, v30 op_sel_hi:[1,0]
	v_mul_f16_e32 v75, 0x3abb, v33
	v_pk_add_f16 v87, v89, v87
	v_pk_fma_f16 v89, 0xb93db08e, v30, v90 op_sel_hi:[1,0,1] neg_lo:[0,0,1] neg_hi:[0,0,1]
	v_pk_fma_f16 v92, 0xb08ebbad, v33, v91 op_sel_hi:[1,0,1] neg_lo:[0,0,1] neg_hi:[0,0,1]
	v_pk_mul_f16 v93, 0xb8533b47, v36 op_sel_hi:[1,0]
	v_bfi_b32 v73, 0xffff, v73, v90
	v_bfi_b32 v74, 0xffff, v74, v94
	v_pk_add_f16 v89, v89, v3 op_sel_hi:[1,0]
	v_pk_mul_f16 v94, 0xb08ebbad, v33 op_sel_hi:[1,0]
	v_pk_mul_f16 v30, 0x36a6b08e, v30 op_sel_hi:[1,0]
	v_mul_f16_e32 v77, 0xb93d, v35
	v_pk_mul_f16 v88, 0x3bebba0c, v70 op_sel_hi:[1,0]
	v_pk_add_f16 v89, v92, v89
	v_pk_fma_f16 v92, 0x3abb36a6, v35, v93 op_sel_hi:[1,0,1] neg_lo:[0,0,1] neg_hi:[0,0,1]
	v_pk_mul_f16 v90, 0xb482b853, v70 op_sel_hi:[1,0]
	v_pk_add_f16 v73, v73, v74
	v_pk_mul_f16 v74, 0x3abb36a6, v35 op_sel_hi:[1,0]
	v_bfi_b32 v76, 0xffff, v76, v91
	v_bfi_b32 v75, 0xffff, v75, v94
	v_pk_fma_f16 v30, 0xbb47bbeb, v32, v30 op_sel_hi:[1,0,1]
	v_pk_mul_f16 v32, 0xb93dbbad, v33 op_sel_hi:[1,0]
	v_mul_f16_e32 v79, 0x36a6, v37
	v_add_f16_e32 v85, v86, v85
	v_fmamk_f16 v86, v37, 0xb93d, v88
	v_pk_add_f16 v89, v92, v89
	v_pk_fma_f16 v92, 0xbbad3abb, v37, v90 op_sel_hi:[1,0,1] neg_lo:[0,0,1] neg_hi:[0,0,1]
	v_pk_mul_f16 v91, 0xbbad3abb, v37 op_sel_hi:[1,0]
	v_pk_add_f16 v73, v73, v3 op_sel_hi:[1,0]
	v_pk_add_f16 v75, v76, v75
	v_bfi_b32 v76, 0xffff, v78, v93
	v_bfi_b32 v74, 0xffff, v77, v74
	v_pk_add_f16 v3, v30, v3 op_sel_hi:[1,0]
	v_pk_fma_f16 v30, 0xba0c3482, v34, v32 op_sel_hi:[1,0,1]
	v_pk_mul_f16 v32, 0xbbad36a6, v35 op_sel_hi:[1,0]
	v_mul_f16_e32 v81, 0xb08e, v71
	v_add_f16_e32 v85, v86, v85
	v_pk_fma_f16 v86, 0xb08eb93d, v37, v88 op_sel_hi:[1,0,1] neg_lo:[0,0,1] neg_hi:[0,0,1]
	v_pk_mul_f16 v88, 0x3853b482, v72 op_sel_hi:[1,0]
	v_pk_add_f16 v89, v92, v89
	v_pk_mul_f16 v92, 0x36a6b93d, v71 op_sel_hi:[1,0]
	v_pk_mul_f16 v77, 0x3b47ba0c, v72 op_sel_hi:[1,0]
	v_pk_add_f16 v73, v75, v73
	v_pk_add_f16 v33, v76, v74
	v_bfi_b32 v74, 0xffff, v80, v90
	v_bfi_b32 v75, 0xffff, v79, v91
	v_pk_add_f16 v3, v30, v3
	v_pk_fma_f16 v30, 0x34823b47, v36, v32 op_sel_hi:[1,0,1]
	v_pk_mul_f16 v32, 0xb08e3abb, v37 op_sel_hi:[1,0]
	v_pk_add_f16 v86, v86, v87
	v_fmamk_f16 v87, v71, 0xbbad, v88
	v_pk_fma_f16 v88, 0x3abbbbad, v71, v88 op_sel_hi:[1,0,1] neg_lo:[0,0,1] neg_hi:[0,0,1]
	v_pk_fma_f16 v34, 0x36a6b93d, v71, v77 op_sel_hi:[1,0,1] neg_lo:[0,0,1] neg_hi:[0,0,1]
	v_pk_add_f16 v33, v33, v73
	v_pk_add_f16 v35, v74, v75
	v_bfi_b32 v36, 0xffff, v82, v77
	v_bfi_b32 v37, 0xffff, v81, v92
	v_pk_add_f16 v3, v30, v3
	v_pk_fma_f16 v30, 0x3bebb853, v70, v32 op_sel_hi:[1,0,1]
	v_pk_mul_f16 v32, 0x3abbb93d, v71 op_sel_hi:[1,0]
	v_pk_add_f16 v33, v35, v33
	v_pk_add_f16 v35, v36, v37
	;; [unrolled: 1-line block ×5, first 2 shown]
	v_pk_fma_f16 v30, 0x3853ba0c, v72, v32 op_sel_hi:[1,0,1]
	v_mad_u32_u24 v69, v6, 22, 0
	v_pk_add_f16 v35, v35, v33
	v_alignbit_b32 v34, v84, v36, 16
	v_alignbit_b32 v33, v36, v37, 16
	v_pack_b32_f16 v32, v83, v37
	v_cmp_gt_u32_e64 s1, 50, v6
	v_pk_add_f16 v3, v30, v3
	v_add_f16_e32 v30, v87, v85
	ds_store_b128 v69, v[32:35]
	ds_store_b32 v69, v3 offset:16
	ds_store_b16 v69, v30 offset:20
	s_and_saveexec_b32 s0, s1
	s_cbranch_execz .LBB0_15
; %bb.14:
	v_pack_b32_f16 v32, v24, v24
	v_pk_mul_f16 v33, 0xb853bb47, v24 op_sel_hi:[1,0]
	v_mul_f16_e32 v24, 0xb482, v24
	v_pack_b32_f16 v36, v23, v23
	v_pk_mul_f16 v37, 0xbb47ba0c, v23 op_sel_hi:[1,0]
	v_mul_f16_e32 v23, 0x3853, v23
	v_add_f16_e32 v3, v2, v44
	v_fma_f16 v78, v22, 0xbbad, -v24
	v_pack_b32_f16 v71, v27, v27
	v_pk_mul_f16 v72, 0xbbeb3482, v27 op_sel_hi:[1,0]
	v_mul_f16_e32 v27, 0xba0c, v27
	v_fma_f16 v80, v21, 0x3abb, -v23
	v_add_f16_e32 v78, v2, v78
	v_add_f16_e32 v3, v3, v42
	v_pack_b32_f16 v74, v28, v28
	v_pk_mul_f16 v75, 0xba0c3beb, v28 op_sel_hi:[1,0]
	v_mul_f16_e32 v28, 0x3b47, v28
	v_fma_f16 v81, v20, 0xb93d, -v27
	v_add_f16_e32 v78, v78, v80
	v_pack_b32_f16 v30, v22, v22
	v_add_f16_e32 v3, v3, v41
	v_pack_b32_f16 v77, v29, v29
	v_pk_mul_f16 v79, 0xb4823853, v29 op_sel_hi:[1,0]
	v_mul_f16_e32 v29, 0xbbeb, v29
	v_fma_f16 v80, v26, 0x36a6, -v28
	v_add_f16_e32 v78, v78, v81
	v_perm_b32 v34, v2, v2, 0x5040100
	v_pack_b32_f16 v35, v21, v21
	v_add_f16_e32 v3, v3, v40
	v_mul_f16_e32 v22, 0xbbad, v22
	v_fma_f16 v81, v25, 0xb08e, -v29
	v_add_f16_e32 v78, v80, v78
	v_pk_mul_f16 v80, 0xb93db08e, v30
	v_pk_mul_f16 v32, 0xba0cbbeb, v32
	v_pk_add_f16 v18, v18, v33 neg_lo:[0,1] neg_hi:[0,1]
	v_pack_b32_f16 v70, v20, v20
	v_add_f16_e32 v3, v3, v9
	v_mul_f16_e32 v21, 0x3abb, v21
	v_add_f16_e32 v78, v78, v81
	v_pk_mul_f16 v81, 0xb08ebbad, v35
	v_pk_mul_f16 v36, 0x3beb3482, v36
	v_pk_add_f16 v18, v34, v18
	v_pk_add_f16 v19, v19, v37 neg_lo:[0,1] neg_hi:[0,1]
	v_pk_fma_f16 v30, 0xb93db08e, v30, v32 neg_lo:[0,0,1] neg_hi:[0,0,1]
	v_bfi_b32 v24, 0xffff, v24, v32
	v_bfi_b32 v22, 0xffff, v22, v80
	v_pack_b32_f16 v73, v26, v26
	v_add_f16_e32 v3, v3, v45
	v_mul_f16_e32 v20, 0xb93d, v20
	v_pk_mul_f16 v83, 0x3abb36a6, v70
	v_pk_mul_f16 v71, 0xb8533b47, v71
	v_pk_add_f16 v18, v18, v19
	v_pk_add_f16 v13, v13, v72 neg_lo:[0,1] neg_hi:[0,1]
	v_pk_add_f16 v19, v34, v30
	v_pk_fma_f16 v30, 0xb08ebbad, v35, v36 neg_lo:[0,0,1] neg_hi:[0,0,1]
	v_pk_add_f16 v22, v24, v22
	v_bfi_b32 v23, 0xffff, v23, v36
	v_bfi_b32 v21, 0xffff, v21, v81
	v_add_f16_e32 v82, v32, v80
	v_pack_b32_f16 v76, v25, v25
	v_add_f16_e32 v3, v43, v3
	v_mul_f16_e32 v26, 0x36a6, v26
	v_pk_mul_f16 v84, 0xbbad3abb, v73
	v_pk_mul_f16 v33, 0xb482b853, v74
	v_pk_add_f16 v13, v18, v13
	v_pk_add_f16 v18, v19, v30
	v_pk_fma_f16 v19, 0x3abb36a6, v70, v71 neg_lo:[0,0,1] neg_hi:[0,0,1]
	v_pk_add_f16 v22, v34, v22
	v_pk_add_f16 v21, v23, v21
	v_bfi_b32 v23, 0xffff, v27, v71
	v_bfi_b32 v20, 0xffff, v20, v83
	v_add_f16_e32 v2, v2, v82
	v_add_f16_e32 v82, v36, v81
	;; [unrolled: 1-line block ×3, first 2 shown]
	v_mul_f16_e32 v25, 0xb08e, v25
	v_pk_mul_f16 v74, 0x36a6b93d, v76
	v_pk_mul_f16 v77, 0x3b47ba0c, v77
	v_pk_add_f16 v12, v12, v75 neg_lo:[0,1] neg_hi:[0,1]
	v_pk_add_f16 v18, v18, v19
	v_pk_fma_f16 v19, 0xbbad3abb, v73, v33 neg_lo:[0,0,1] neg_hi:[0,0,1]
	v_pk_add_f16 v21, v22, v21
	v_pk_add_f16 v20, v23, v20
	v_bfi_b32 v22, 0xffff, v28, v33
	v_bfi_b32 v23, 0xffff, v26, v84
	v_add_f16_e32 v2, v2, v82
	v_add_f16_e32 v37, v71, v83
	;; [unrolled: 1-line block ×3, first 2 shown]
	v_pk_add_f16 v12, v12, v13
	v_pk_add_f16 v13, v19, v18
	v_pk_add_f16 v18, v21, v20
	v_pk_add_f16 v19, v22, v23
	v_bfi_b32 v20, 0xffff, v29, v77
	v_bfi_b32 v21, 0xffff, v25, v74
	v_pk_fma_f16 v22, 0x36a6b93d, v76, v77 neg_lo:[0,0,1] neg_hi:[0,0,1]
	v_pk_add_f16 v8, v8, v79 neg_lo:[0,1] neg_hi:[0,1]
	v_add_f16_e32 v2, v2, v37
	v_add_f16_e32 v23, v33, v84
	v_add_f16_e32 v3, v48, v3
	v_pk_add_f16 v18, v19, v18
	v_pk_add_f16 v19, v20, v21
	;; [unrolled: 1-line block ×4, first 2 shown]
	v_add_f16_e32 v2, v23, v2
	v_add_f16_e32 v12, v77, v74
	v_pk_add_f16 v21, v18, v19
	v_alignbit_b32 v20, v78, v13, 16
	v_pack_b32_f16 v19, v8, v13
	v_bfi_b32 v18, 0xffff, v3, v8
	v_add_f16_e32 v2, v2, v12
	ds_store_b128 v69, v[18:21] offset:1210
	ds_store_b16 v69, v2 offset:1226
	ds_store_b32 v69, v0 offset:1228
.LBB0_15:
	s_wait_alu 0xfffe
	s_or_b32 exec_lo, exec_lo, s0
	v_mad_i32_i24 v8, 0xffffffec, v6, v69
	global_wb scope:SCOPE_SE
	s_wait_dscnt 0x0
	s_barrier_signal -1
	s_barrier_wait -1
	global_inv scope:SCOPE_SE
	ds_load_u16 v2, v8
	ds_load_u16 v3, v8 offset:110
	ds_load_u16 v12, v8 offset:220
	;; [unrolled: 1-line block ×19, first 2 shown]
	v_cmp_gt_u32_e64 s0, 11, v6
                                        ; implicit-def: $vgpr35
                                        ; implicit-def: $vgpr37
                                        ; implicit-def: $vgpr36
	s_delay_alu instid0(VALU_DEP_1)
	s_and_saveexec_b32 s2, s0
	s_cbranch_execz .LBB0_17
; %bb.16:
	ds_load_u16 v0, v8 offset:440
	ds_load_u16 v36, v8 offset:1364
	ds_load_u16 v35, v8 offset:2288
	s_wait_dscnt 0x2
	ds_load_u16_d16_hi v0, v8 offset:902
	ds_load_u16 v37, v8 offset:1826
.LBB0_17:
	s_wait_alu 0xfffe
	s_or_b32 exec_lo, exec_lo, s2
	v_add_f16_e32 v70, v1, v68
	v_sub_f16_e32 v53, v53, v57
	v_sub_f16_e32 v51, v51, v54
	;; [unrolled: 1-line block ×3, first 2 shown]
	v_add_f16_e32 v68, v64, v68
	v_add_f16_e32 v57, v70, v67
	;; [unrolled: 1-line block ×4, first 2 shown]
	v_pk_mul_f16 v75, 0xbb47b853, v55 op_sel_hi:[1,0]
	v_sub_f16_e32 v52, v52, v56
	v_add_f16_e32 v54, v57, v66
	v_add_f16_e32 v56, v65, v62
	v_mul_f16_e32 v66, 0xb482, v55
	v_pk_mul_f16 v76, 0xba0cbb47, v53 op_sel_hi:[1,0]
	v_mul_f16_e32 v71, 0x3853, v53
	v_add_f16_e32 v54, v54, v65
	v_pk_mul_f16 v77, 0x3482bbeb, v52 op_sel_hi:[1,0]
	v_fmamk_f16 v79, v68, 0xbbad, v66
	v_fma_f16 v83, v58, 0x36a6, -v76
	v_mul_f16_e32 v72, 0xba0c, v52
	v_add_f16_e32 v54, v54, v59
	v_pk_mul_f16 v78, 0x3bebba0c, v51 op_sel_hi:[1,0]
	v_fmamk_f16 v80, v58, 0x3abb, v71
	v_add_f16_e32 v79, v79, v1
	v_fmamk_f16 v81, v67, 0xb93d, v72
	v_add_f16_e32 v54, v54, v63
	v_add_f16_e32 v59, v63, v59
	v_sub_f16_e32 v49, v49, v50
	v_mul_f16_e32 v57, 0xbbad, v68
	v_mul_f16_e32 v70, 0x3abb, v58
	v_add_f16_e32 v54, v54, v62
	v_fma_f16 v62, v68, 0x3abb, -v75
	v_pk_fma_f16 v75, 0x36a63abb, v68, v75 op_sel_hi:[1,0,1]
	v_pk_mul_f16 v63, 0x3abbbbad, v59 op_sel_hi:[1,0]
	v_mul_f16_e32 v65, 0xb93d, v67
	v_add_f16_e32 v54, v54, v61
	v_pk_fma_f16 v61, 0xb93d36a6, v58, v76 op_sel_hi:[1,0,1]
	v_add_f16_e32 v62, v62, v1
	v_pk_add_f16 v75, v75, v1 op_sel_hi:[1,0]
	v_add_f16_e32 v76, v80, v79
	v_add_f16_e32 v54, v54, v60
	v_fma_f16 v60, v67, 0xb08e, -v77
	v_add_f16_e32 v62, v83, v62
	v_pk_add_f16 v61, v61, v75
	v_add_f16_e32 v75, v81, v76
	v_add_f16_e32 v64, v64, v54
	v_pk_fma_f16 v54, 0xbbadb08e, v67, v77 op_sel_hi:[1,0,1]
	v_add_f16_e32 v60, v60, v62
	v_fma_f16 v62, v56, 0xb93d, -v78
	v_pk_mul_f16 v77, 0x3beb3482, v53 op_sel_hi:[1,0]
	v_pk_mul_f16 v53, 0x3a0cb482, v53 op_sel_hi:[1,0]
	v_pk_add_f16 v50, v54, v61
	v_pk_mul_f16 v54, 0xba0cbbeb, v55 op_sel_hi:[1,0]
	v_add_f16_e32 v60, v62, v60
	v_pk_fma_f16 v61, 0xb08eb93d, v56, v78 op_sel_hi:[1,0,1]
	v_pk_mul_f16 v62, 0x3853b482, v49 op_sel_hi:[1,0]
	v_pk_mul_f16 v78, 0xb8533b47, v52 op_sel_hi:[1,0]
	v_pk_fma_f16 v76, 0xb93db08e, v68, v54 op_sel_hi:[1,0,1]
	v_pk_mul_f16 v55, 0x3b473beb, v55 op_sel_hi:[1,0]
	v_pk_add_f16 v50, v61, v50
	v_pk_fma_f16 v61, 0x3abbbbad, v59, v62 op_sel_hi:[1,0,1]
	v_sub_f16_e32 v62, v63, v62
	v_pk_add_f16 v63, v76, v1 op_sel_hi:[1,0]
	v_pk_fma_f16 v76, 0xb08ebbad, v58, v77 op_sel_hi:[1,0,1]
	v_pk_fma_f16 v55, 0x36a6b08e, v68, v55 op_sel_hi:[1,0,1]
	v_pk_add_f16 v61, v61, v50
	v_add_f16_e32 v60, v62, v60
	v_pk_fma_f16 v62, 0x3abb36a6, v67, v78 op_sel_hi:[1,0,1]
	v_pk_add_f16 v50, v76, v63
	v_pk_mul_f16 v63, 0xb482b853, v51 op_sel_hi:[1,0]
	v_pk_mul_f16 v76, 0xb93db08e, v68 op_sel_hi:[1,0]
	;; [unrolled: 1-line block ×3, first 2 shown]
	v_pk_fma_f16 v53, 0xb93dbbad, v58, v53 op_sel_hi:[1,0,1]
	v_pk_add_f16 v50, v62, v50
	v_pk_fma_f16 v62, 0xbbad3abb, v56, v63 op_sel_hi:[1,0,1]
	v_pk_mul_f16 v52, 0xb482bb47, v52 op_sel_hi:[1,0]
	v_bfi_b32 v54, 0xffff, v66, v54
	v_mul_f16_e32 v74, 0x3b47, v51
	v_pk_mul_f16 v68, 0x3abb36a6, v67 op_sel_hi:[1,0]
	v_pk_add_f16 v62, v62, v50
	v_pk_add_f16 v50, v55, v1 op_sel_hi:[1,0]
	v_bfi_b32 v55, 0xffff, v57, v76
	v_pk_fma_f16 v52, 0xbbad36a6, v67, v52 op_sel_hi:[1,0,1]
	v_pk_mul_f16 v51, 0xbbeb3853, v51 op_sel_hi:[1,0]
	v_mul_f16_e32 v73, 0x36a6, v56
	v_pk_add_f16 v50, v53, v50
	v_pk_add_f16 v53, v55, v54 neg_lo:[0,1] neg_hi:[0,1]
	v_bfi_b32 v54, 0xffff, v70, v79
	v_bfi_b32 v55, 0xffff, v71, v77
	v_pk_fma_f16 v51, 0xb08e3abb, v56, v51 op_sel_hi:[1,0,1]
	v_pk_add_f16 v50, v52, v50
	v_pk_add_f16 v1, v53, v1 op_sel_hi:[1,0]
	v_bfi_b32 v53, 0xffff, v65, v68
	v_pk_add_f16 v52, v54, v55 neg_lo:[0,1] neg_hi:[0,1]
	v_bfi_b32 v54, 0xffff, v72, v78
	v_pk_mul_f16 v55, 0xb8533a0c, v49 op_sel_hi:[1,0]
	v_pk_add_f16 v65, v51, v50
	v_pk_mul_f16 v80, 0xbbad3abb, v56 op_sel_hi:[1,0]
	v_pk_add_f16 v1, v52, v1
	v_pk_add_f16 v50, v53, v54 neg_lo:[0,1] neg_hi:[0,1]
	v_sub_f16_e32 v53, v44, v48
	v_pk_fma_f16 v66, 0x3abbb93d, v59, v55 op_sel_hi:[1,0,1]
	v_add_f16_e32 v48, v39, v10
	v_sub_f16_e32 v55, v42, v47
	v_pk_mul_f16 v58, 0x3b47ba0c, v49 op_sel_hi:[1,0]
	v_pk_mul_f16 v44, 0xb853bb47, v53 op_sel_hi:[1,0]
	v_mul_f16_e32 v68, 0xbbeb, v49
	v_pk_add_f16 v1, v50, v1
	v_bfi_b32 v42, 0xffff, v73, v80
	v_bfi_b32 v49, 0xffff, v74, v63
	v_add_f16_e32 v47, v38, v11
	v_pk_fma_f16 v52, 0x3abb36a6, v48, v44 op_sel_hi:[1,0,1] neg_lo:[0,0,1] neg_hi:[0,0,1]
	v_pk_mul_f16 v50, 0xbb47ba0c, v55 op_sel_hi:[1,0]
	v_sub_f16_e32 v54, v41, v46
	v_pk_mul_f16 v57, 0x36a6b93d, v59 op_sel_hi:[1,0]
	v_mul_f16_e32 v67, 0xb08e, v59
	v_pk_add_f16 v63, v42, v49 neg_lo:[0,1] neg_hi:[0,1]
	v_add_f16_e32 v51, v31, v14
	v_pk_add_f16 v41, v7, v52 op_sel:[1,0]
	v_pk_fma_f16 v46, 0x36a6b93d, v47, v50 op_sel_hi:[1,0,1] neg_lo:[0,0,1] neg_hi:[0,0,1]
	v_pk_mul_f16 v52, 0xbbeb3482, v54 op_sel_hi:[1,0]
	v_sub_f16_e32 v49, v40, v43
	v_fmamk_f16 v82, v56, 0x36a6, v74
	v_bfi_b32 v57, 0xffff, v67, v57
	v_add_f16_e32 v42, v17, v15
	v_pk_add_f16 v43, v41, v46
	v_pk_fma_f16 v67, 0xb08ebbad, v51, v52 op_sel_hi:[1,0,1] neg_lo:[0,0,1] neg_hi:[0,0,1]
	v_pk_mul_f16 v46, 0xba0c3beb, v49 op_sel_hi:[1,0]
	v_sub_f16_e32 v41, v9, v45
	v_add_f16_e32 v75, v82, v75
	v_pk_fma_f16 v56, 0x36a6b93d, v59, v58 op_sel_hi:[1,0,1]
	v_bfi_b32 v9, 0xffff, v68, v58
	v_add_f16_e32 v40, v16, v7
	v_pk_add_f16 v45, v43, v67
	v_pk_fma_f16 v58, 0xb93db08e, v42, v46 op_sel_hi:[1,0,1] neg_lo:[0,0,1] neg_hi:[0,0,1]
	v_pk_mul_f16 v43, 0xb4823853, v41 op_sel_hi:[1,0]
	v_fmamk_f16 v59, v59, 0xb08e, v68
	v_pk_add_f16 v1, v63, v1
	v_pk_add_f16 v9, v57, v9 neg_lo:[0,1] neg_hi:[0,1]
	v_pk_add_f16 v45, v58, v45
	v_pk_fma_f16 v57, 0xbbad3abb, v40, v43 op_sel_hi:[1,0,1] neg_lo:[0,0,1] neg_hi:[0,0,1]
	v_pk_add_f16 v56, v56, v62
	v_add_f16_e32 v58, v59, v75
	v_pk_add_f16 v59, v9, v1
	v_add_nc_u32_e32 v9, 55, v6
	v_pk_add_f16 v1, v45, v57
	v_alignbit_b32 v57, v56, v61, 16
	v_alignbit_b32 v58, v58, v56, 16
	v_pack_b32_f16 v56, v64, v61
	v_pk_add_f16 v62, v66, v65
	global_wb scope:SCOPE_SE
	s_wait_dscnt 0x0
	s_barrier_signal -1
	s_barrier_wait -1
	global_inv scope:SCOPE_SE
	ds_store_b128 v69, v[56:59]
	ds_store_b32 v69, v62 offset:16
	ds_store_b16 v69, v60 offset:20
	s_and_saveexec_b32 s2, s1
	s_cbranch_execz .LBB0_19
; %bb.18:
	v_lshrrev_b32_e32 v56, 16, v7
	v_pk_mul_f16 v57, 0x3abb36a6, v48 op_sel_hi:[1,0]
	v_pk_mul_f16 v61, 0x36a6b93d, v47 op_sel_hi:[1,0]
	v_bfi_b32 v16, 0xffff, v16, v44
	v_pk_mul_f16 v64, 0xb08ebbad, v51 op_sel_hi:[1,0]
	v_add_f16_e32 v39, v56, v39
	v_pack_b32_f16 v58, v53, v53
	v_perm_b32 v59, v7, v7, 0x7060302
	v_pk_mul_f16 v66, 0xb93db08e, v42 op_sel_hi:[1,0]
	v_add_f16_e32 v44, v57, v44
	v_add_f16_e32 v38, v39, v38
	v_pack_b32_f16 v45, v48, v48
	v_pack_b32_f16 v62, v55, v55
	;; [unrolled: 1-line block ×3, first 2 shown]
	v_add_f16_e32 v44, v56, v44
	v_add_f16_e32 v31, v38, v31
	v_pack_b32_f16 v39, v54, v54
	v_pack_b32_f16 v63, v51, v51
	v_mul_f16_e32 v53, 0xb482, v53
	v_pack_b32_f16 v38, v49, v49
	v_add_f16_e32 v17, v31, v17
	v_pk_mul_f16 v31, 0xbbad3abb, v40 op_sel_hi:[1,0]
	v_pk_mul_f16 v39, 0xb8533b47, v39
	v_pack_b32_f16 v65, v42, v42
	v_fmamk_f16 v67, v48, 0xbbad, v53
	v_bfi_b32 v17, 0xffff, v17, v57
	v_pk_add_f16 v31, v31, v43
	v_pk_mul_f16 v43, 0x3beb3482, v62
	v_mul_f16_e32 v55, 0x3853, v55
	v_mul_f16_e32 v48, 0xbbad, v48
	v_pk_add_f16 v16, v17, v16
	v_pk_add_f16 v17, v61, v50
	v_bfi_b32 v10, 0xffff, v10, v31
	v_fmamk_f16 v69, v47, 0x3abb, v55
	v_mul_f16_e32 v47, 0x3abb, v47
	v_pk_add_f16 v7, v16, v7
	v_bfi_b32 v15, 0xffff, v15, v17
	v_pk_add_f16 v16, v64, v52
	v_add_f16_e32 v67, v56, v67
	v_mul_f16_e32 v54, 0xba0c, v54
	v_mul_f16_e32 v50, 0xb93d, v51
	v_pk_add_f16 v7, v15, v7
	v_bfi_b32 v14, 0xffff, v14, v16
	v_pk_add_f16 v15, v66, v46
	v_pk_mul_f16 v46, 0xba0cbbeb, v58
	v_pack_b32_f16 v68, v40, v40
	v_pack_b32_f16 v70, v41, v41
	v_pk_add_f16 v7, v14, v7
	v_bfi_b32 v11, 0xffff, v11, v15
	v_add_f16_e32 v14, v44, v17
	v_pk_fma_f16 v17, 0xb93db08e, v45, v46
	v_pk_mul_f16 v44, 0x3abb36a6, v63
	v_add_f16_e32 v67, v67, v69
	v_pk_add_f16 v7, v11, v7
	v_add_f16_e32 v11, v14, v16
	v_pk_add_f16 v16, v59, v17
	v_pk_fma_f16 v17, 0xb08ebbad, v60, v43
	v_fmamk_f16 v69, v51, 0xb93d, v54
	v_pk_add_f16 v14, v10, v7
	v_add_f16_e32 v7, v15, v11
	v_pk_fma_f16 v11, 0x3abb36a6, v63, v39
	v_pk_add_f16 v10, v16, v17
	v_pk_mul_f16 v15, 0xb482b853, v38
	v_pk_mul_f16 v16, 0xb93db08e, v45
	v_add_f16_e32 v7, v7, v31
	v_pk_mul_f16 v17, 0xb08ebbad, v60
	v_pk_add_f16 v10, v10, v11
	v_pk_fma_f16 v11, 0xbbad3abb, v65, v15
	v_bfi_b32 v31, 0xffff, v48, v16
	v_bfi_b32 v38, 0xffff, v53, v46
	v_mul_f16_e32 v52, 0x36a6, v42
	v_mul_f16_e32 v49, 0x3b47, v49
	v_pk_add_f16 v10, v11, v10
	v_sub_f16_e32 v11, v16, v46
	v_pk_add_f16 v16, v31, v38 neg_lo:[0,1] neg_hi:[0,1]
	v_bfi_b32 v31, 0xffff, v47, v17
	v_bfi_b32 v38, 0xffff, v55, v43
	v_pk_mul_f16 v45, 0xbbad3abb, v65
	v_sub_f16_e32 v17, v17, v43
	v_add_f16_e32 v11, v56, v11
	v_pk_add_f16 v16, v59, v16
	v_pk_add_f16 v31, v31, v38 neg_lo:[0,1] neg_hi:[0,1]
	v_bfi_b32 v38, 0xffff, v50, v44
	v_bfi_b32 v43, 0xffff, v54, v39
	v_add_f16_e32 v51, v67, v69
	v_fmamk_f16 v42, v42, 0x36a6, v49
	v_pk_mul_f16 v46, 0x3b47ba0c, v70
	v_pk_mul_f16 v47, 0x36a6b93d, v68
	v_add_f16_e32 v11, v11, v17
	v_pk_add_f16 v16, v16, v31
	v_pk_add_f16 v17, v38, v43 neg_lo:[0,1] neg_hi:[0,1]
	v_bfi_b32 v31, 0xffff, v52, v45
	v_bfi_b32 v38, 0xffff, v49, v15
	v_mul_f16_e32 v43, 0xb08e, v40
	v_mul_f16_e32 v41, 0xbbeb, v41
	v_sub_f16_e32 v39, v44, v39
	v_add_f16_e32 v42, v42, v51
	v_pk_fma_f16 v48, 0x36a6b93d, v68, v46
	v_pk_add_f16 v16, v16, v17
	v_pk_add_f16 v17, v31, v38 neg_lo:[0,1] neg_hi:[0,1]
	v_bfi_b32 v31, 0xffff, v43, v47
	v_bfi_b32 v38, 0xffff, v41, v46
	v_add_f16_e32 v11, v11, v39
	v_fmamk_f16 v39, v40, 0xb08e, v41
	v_sub_f16_e32 v15, v45, v15
	v_pk_add_f16 v16, v17, v16
	v_pk_add_f16 v17, v31, v38 neg_lo:[0,1] neg_hi:[0,1]
	v_pk_add_f16 v10, v10, v48
	v_add_f16_e32 v31, v42, v39
	v_add_f16_e32 v11, v15, v11
	v_sub_f16_e32 v38, v47, v46
	v_pk_add_f16 v17, v16, v17
	v_mad_u32_u24 v39, v9, 22, 0
	v_alignbit_b32 v16, v31, v10, 16
	v_pack_b32_f16 v15, v7, v10
	v_add_f16_e32 v7, v11, v38
	ds_store_b128 v39, v[14:17]
	ds_store_b16 v39, v7 offset:16
	ds_store_b32 v39, v1 offset:18
.LBB0_19:
	s_wait_alu 0xfffe
	s_or_b32 exec_lo, exec_lo, s2
	global_wb scope:SCOPE_SE
	s_wait_dscnt 0x0
	s_barrier_signal -1
	s_barrier_wait -1
	global_inv scope:SCOPE_SE
	ds_load_u16 v14, v8
	ds_load_u16 v15, v8 offset:110
	ds_load_u16 v16, v8 offset:220
	ds_load_u16 v59, v8 offset:924
	ds_load_u16 v56, v8 offset:1034
	ds_load_u16 v46, v8 offset:1144
	ds_load_u16 v57, v8 offset:572
	ds_load_u16 v51, v8 offset:682
	ds_load_u16 v47, v8 offset:792
	ds_load_u16 v63, v8 offset:462
	ds_load_u16 v17, v8 offset:330
	ds_load_u16 v58, v8 offset:1496
	ds_load_u16 v54, v8 offset:1606
	ds_load_u16 v49, v8 offset:1716
	ds_load_u16 v62, v8 offset:1386
	ds_load_u16 v52, v8 offset:1254
	ds_load_u16 v61, v8 offset:1848
	ds_load_u16 v60, v8 offset:1958
	ds_load_u16 v55, v8 offset:2068
	ds_load_u16 v53, v8 offset:2178
                                        ; implicit-def: $vgpr64
                                        ; implicit-def: $vgpr66
                                        ; implicit-def: $vgpr65
	s_and_saveexec_b32 s1, s0
	s_cbranch_execz .LBB0_21
; %bb.20:
	ds_load_u16 v1, v8 offset:440
	ds_load_u16 v65, v8 offset:1364
	;; [unrolled: 1-line block ×3, first 2 shown]
	s_wait_dscnt 0x2
	ds_load_u16_d16_hi v1, v8 offset:902
	ds_load_u16 v66, v8 offset:1826
.LBB0_21:
	s_wait_alu 0xfffe
	s_or_b32 exec_lo, exec_lo, s1
	v_add_nc_u32_e32 v7, 0xdc, v6
	v_and_b32_e32 v10, 0xff, v6
	v_and_b32_e32 v11, 0xff, v9
	v_lshrrev_b32_e32 v89, 16, v0
	s_wait_dscnt 0x1
	v_lshrrev_b32_e32 v90, 16, v1
	v_and_b32_e32 v31, 0xffff, v7
	v_mul_lo_u16 v10, 0x75, v10
	v_mul_lo_u16 v11, 0x75, v11
	s_delay_alu instid0(VALU_DEP_3) | instskip(NEXT) | instid1(VALU_DEP_3)
	v_mul_u32_u24_e32 v31, 0xba2f, v31
	v_lshrrev_b16 v38, 8, v10
	s_delay_alu instid0(VALU_DEP_3) | instskip(SKIP_1) | instid1(VALU_DEP_4)
	v_lshrrev_b16 v39, 8, v11
	v_add_nc_u32_e32 v10, 0x6e, v6
	v_lshrrev_b32_e32 v11, 19, v31
	s_delay_alu instid0(VALU_DEP_4) | instskip(NEXT) | instid1(VALU_DEP_4)
	v_sub_nc_u16 v31, v6, v38
	v_sub_nc_u16 v40, v9, v39
	s_delay_alu instid0(VALU_DEP_3) | instskip(NEXT) | instid1(VALU_DEP_3)
	v_mul_lo_u16 v11, v11, 11
	v_lshrrev_b16 v41, 1, v31
	v_and_b32_e32 v31, 0xff, v10
	s_delay_alu instid0(VALU_DEP_4) | instskip(NEXT) | instid1(VALU_DEP_4)
	v_lshrrev_b16 v40, 1, v40
	v_sub_nc_u16 v42, v7, v11
	s_delay_alu instid0(VALU_DEP_4) | instskip(NEXT) | instid1(VALU_DEP_4)
	v_and_b32_e32 v41, 0x7f, v41
	v_mul_lo_u16 v43, 0x75, v31
	s_delay_alu instid0(VALU_DEP_4)
	v_and_b32_e32 v40, 0x7f, v40
	v_add_nc_u32_e32 v11, 0xa5, v6
	v_and_b32_e32 v42, 0xffff, v42
	v_add_nc_u16 v38, v41, v38
	v_lshrrev_b16 v43, 8, v43
	v_add_nc_u16 v39, v40, v39
	v_and_b32_e32 v41, 0xff, v11
	v_lshlrev_b32_e32 v40, 4, v42
	v_lshrrev_b16 v38, 3, v38
	v_sub_nc_u16 v44, v10, v43
	v_lshrrev_b16 v39, 3, v39
	v_mul_lo_u16 v41, 0x75, v41
	global_load_b128 v[67:70], v40, s[4:5]
	v_lshrrev_b16 v44, 1, v44
	v_mul_lo_u16 v45, v39, 11
	v_lshrrev_b16 v41, 8, v41
	v_and_b32_e32 v39, 0xffff, v39
	s_delay_alu instid0(VALU_DEP_4) | instskip(NEXT) | instid1(VALU_DEP_4)
	v_and_b32_e32 v44, 0x7f, v44
	v_sub_nc_u16 v45, v9, v45
	s_delay_alu instid0(VALU_DEP_4) | instskip(NEXT) | instid1(VALU_DEP_4)
	v_sub_nc_u16 v48, v11, v41
	v_mul_u32_u24_e32 v39, 0x6e, v39
	s_delay_alu instid0(VALU_DEP_4) | instskip(NEXT) | instid1(VALU_DEP_4)
	v_add_nc_u16 v43, v44, v43
	v_and_b32_e32 v44, 0xff, v45
	s_delay_alu instid0(VALU_DEP_4) | instskip(NEXT) | instid1(VALU_DEP_3)
	v_lshrrev_b16 v48, 1, v48
	v_lshrrev_b16 v43, 3, v43
	s_delay_alu instid0(VALU_DEP_3) | instskip(NEXT) | instid1(VALU_DEP_3)
	v_lshlrev_b32_e32 v50, 4, v44
	v_and_b32_e32 v48, 0x7f, v48
	v_lshlrev_b32_e32 v44, 1, v44
	global_load_b128 v[77:80], v50, s[4:5]
	v_mul_lo_u16 v40, v38, 11
	v_add_nc_u16 v41, v48, v41
	v_and_b32_e32 v38, 0xffff, v38
	s_delay_alu instid0(VALU_DEP_3) | instskip(NEXT) | instid1(VALU_DEP_3)
	v_sub_nc_u16 v40, v6, v40
	v_lshrrev_b16 v41, 3, v41
	s_delay_alu instid0(VALU_DEP_2) | instskip(NEXT) | instid1(VALU_DEP_2)
	v_and_b32_e32 v40, 0xff, v40
	v_mul_lo_u16 v48, v41, 11
	v_and_b32_e32 v41, 0xffff, v41
	s_delay_alu instid0(VALU_DEP_3) | instskip(SKIP_1) | instid1(VALU_DEP_3)
	v_lshlrev_b32_e32 v45, 4, v40
	v_lshlrev_b32_e32 v40, 1, v40
	v_mul_u32_u24_e32 v41, 0x6e, v41
	global_load_b128 v[73:76], v45, s[4:5]
	v_mul_lo_u16 v45, v43, 11
	v_and_b32_e32 v43, 0xffff, v43
	s_delay_alu instid0(VALU_DEP_2) | instskip(NEXT) | instid1(VALU_DEP_1)
	v_sub_nc_u16 v45, v10, v45
	v_and_b32_e32 v71, 0xff, v45
	v_sub_nc_u16 v45, v11, v48
	s_delay_alu instid0(VALU_DEP_2) | instskip(NEXT) | instid1(VALU_DEP_2)
	v_lshlrev_b32_e32 v48, 4, v71
	v_and_b32_e32 v72, 0xff, v45
	global_load_b128 v[81:84], v48, s[4:5]
	v_lshlrev_b32_e32 v45, 4, v72
	global_load_b128 v[85:88], v45, s[4:5]
	v_mul_u32_u24_e32 v45, 0x6e, v38
	v_lshl_add_u32 v38, v42, 1, 0
	v_mul_u32_u24_e32 v42, 0x6e, v43
	global_wb scope:SCOPE_SE
	s_wait_loadcnt_dscnt 0x0
	s_barrier_signal -1
	v_add3_u32 v50, 0, v45, v40
	v_add3_u32 v45, 0, v39, v44
	v_lshlrev_b32_e32 v39, 1, v71
	v_lshlrev_b32_e32 v40, 1, v72
	s_barrier_wait -1
	global_inv scope:SCOPE_SE
	v_add3_u32 v48, 0, v42, v39
	v_add3_u32 v43, 0, v41, v40
	v_lshrrev_b32_e32 v39, 16, v67
	v_lshrrev_b32_e32 v41, 16, v68
	;; [unrolled: 1-line block ×4, first 2 shown]
	s_delay_alu instid0(VALU_DEP_4)
	v_mul_f16_e32 v71, v90, v39
	v_mul_f16_e32 v40, v89, v39
	;; [unrolled: 1-line block ×8, first 2 shown]
	v_fmac_f16_e32 v41, v65, v68
	v_fma_f16 v44, v89, v67, -v71
	v_fmac_f16_e32 v42, v66, v69
	v_fmac_f16_e32 v39, v64, v70
	;; [unrolled: 1-line block ×3, first 2 shown]
	v_fma_f16 v36, v36, v68, -v72
	v_fma_f16 v37, v37, v69, -v91
	v_fma_f16 v35, v35, v70, -v92
	v_lshrrev_b32_e32 v72, 16, v77
	v_lshrrev_b32_e32 v89, 16, v78
	;; [unrolled: 1-line block ×4, first 2 shown]
	s_delay_alu instid0(VALU_DEP_4) | instskip(NEXT) | instid1(VALU_DEP_4)
	v_mul_f16_e32 v96, v57, v72
	v_mul_f16_e32 v97, v56, v89
	v_lshrrev_b32_e32 v64, 16, v73
	v_lshrrev_b32_e32 v65, 16, v74
	;; [unrolled: 1-line block ×4, first 2 shown]
	s_delay_alu instid0(VALU_DEP_4)
	v_mul_f16_e32 v92, v63, v64
	v_mul_f16_e32 v69, v34, v64
	;; [unrolled: 1-line block ×14, first 2 shown]
	v_fma_f16 v72, v34, v73, -v92
	v_fmac_f16_e32 v69, v63, v73
	v_lshrrev_b32_e32 v91, 16, v81
	v_lshrrev_b32_e32 v98, 16, v82
	;; [unrolled: 1-line block ×4, first 2 shown]
	v_fma_f16 v63, v29, v74, -v93
	v_fmac_f16_e32 v70, v59, v74
	v_lshrrev_b32_e32 v29, 16, v85
	v_lshrrev_b32_e32 v74, 16, v86
	v_fma_f16 v73, v33, v75, -v94
	v_lshrrev_b32_e32 v93, 16, v87
	v_fmac_f16_e32 v68, v62, v75
	v_lshrrev_b32_e32 v75, 16, v88
	v_fma_f16 v62, v32, v76, -v95
	v_fmac_f16_e32 v71, v61, v76
	v_fma_f16 v61, v27, v77, -v96
	v_fmac_f16_e32 v64, v57, v77
	;; [unrolled: 2-line block ×5, first 2 shown]
	v_mul_f16_e32 v56, v51, v91
	v_mul_f16_e32 v30, v21, v91
	;; [unrolled: 1-line block ×16, first 2 shown]
	v_fma_f16 v56, v21, v81, -v56
	v_fmac_f16_e32 v30, v51, v81
	v_fma_f16 v51, v18, v82, -v60
	v_fma_f16 v24, v24, v83, -v76
	v_fmac_f16_e32 v33, v54, v83
	v_fma_f16 v25, v25, v84, -v77
	v_fmac_f16_e32 v34, v55, v84
	v_fma_f16 v21, v19, v85, -v78
	v_fma_f16 v18, v22, v86, -v79
	v_fmac_f16_e32 v28, v52, v86
	v_fma_f16 v19, v20, v87, -v74
	v_fmac_f16_e32 v29, v49, v87
	;; [unrolled: 2-line block ×3, first 2 shown]
	v_add_f16_e32 v23, v63, v73
	v_sub_f16_e32 v49, v72, v63
	v_sub_f16_e32 v52, v62, v73
	v_add_f16_e32 v53, v72, v62
	v_sub_f16_e32 v54, v63, v72
	v_sub_f16_e32 v55, v73, v62
	v_add_f16_e32 v60, v3, v61
	v_add_f16_e32 v74, v57, v59
	v_sub_f16_e32 v77, v61, v57
	v_sub_f16_e32 v78, v58, v59
	v_add_f16_e32 v79, v61, v58
	v_sub_f16_e32 v80, v57, v61
	v_sub_f16_e32 v81, v59, v58
	v_fmac_f16_e32 v32, v46, v82
	v_fmac_f16_e32 v27, v47, v85
	v_add_f16_e32 v22, v2, v72
	v_sub_f16_e32 v46, v69, v71
	v_sub_f16_e32 v47, v70, v68
	;; [unrolled: 1-line block ×4, first 2 shown]
	v_fma_f16 v23, -0.5, v23, v2
	v_add_f16_e32 v49, v49, v52
	v_fmac_f16_e32 v2, -0.5, v53
	v_add_f16_e32 v52, v54, v55
	v_add_f16_e32 v53, v60, v57
	v_fma_f16 v54, -0.5, v74, v3
	v_add_f16_e32 v55, v77, v78
	v_fmac_f16_e32 v3, -0.5, v79
	v_add_f16_e32 v60, v80, v81
	v_add_f16_e32 v74, v12, v56
	v_add_f16_e32 v77, v51, v24
	v_sub_f16_e32 v80, v56, v51
	v_sub_f16_e32 v81, v25, v24
	v_add_f16_e32 v82, v56, v25
	v_sub_f16_e32 v83, v51, v56
	v_sub_f16_e32 v84, v24, v25
	v_add_f16_e32 v85, v13, v21
	v_add_f16_e32 v86, v18, v19
	v_sub_f16_e32 v89, v21, v18
	v_sub_f16_e32 v90, v20, v19
	v_add_f16_e32 v91, v21, v20
	v_add_f16_e32 v22, v22, v63
	v_sub_f16_e32 v78, v30, v34
	v_sub_f16_e32 v79, v32, v33
	v_sub_f16_e32 v87, v27, v26
	v_sub_f16_e32 v88, v28, v29
	v_add_f16_e32 v80, v80, v81
	v_fma_f16 v77, -0.5, v77, v12
	v_fmac_f16_e32 v12, -0.5, v82
	v_add_f16_e32 v81, v83, v84
	v_add_f16_e32 v82, v89, v90
	v_fmamk_f16 v83, v46, 0x3b9c, v23
	v_fmac_f16_e32 v23, 0xbb9c, v46
	v_fma_f16 v84, -0.5, v86, v13
	v_fmac_f16_e32 v13, -0.5, v91
	v_fmamk_f16 v86, v47, 0xbb9c, v2
	v_fmac_f16_e32 v2, 0x3b9c, v47
	v_add_f16_e32 v53, v53, v59
	v_fmamk_f16 v90, v75, 0x3b9c, v54
	v_fmac_f16_e32 v54, 0xbb9c, v75
	v_fmamk_f16 v91, v76, 0xbb9c, v3
	v_fmac_f16_e32 v3, 0x3b9c, v76
	v_add_f16_e32 v74, v74, v51
	v_add_f16_e32 v85, v85, v18
	v_sub_f16_e32 v92, v18, v21
	v_sub_f16_e32 v93, v19, v20
	v_add_f16_e32 v22, v22, v73
	v_fmac_f16_e32 v83, 0x38b4, v47
	v_fmac_f16_e32 v23, 0xb8b4, v47
	;; [unrolled: 1-line block ×4, first 2 shown]
	v_add_f16_e32 v46, v53, v58
	v_fmac_f16_e32 v90, 0x38b4, v76
	v_fmac_f16_e32 v54, 0xb8b4, v76
	v_fmac_f16_e32 v91, 0x38b4, v75
	v_fmac_f16_e32 v3, 0xb8b4, v75
	v_add_f16_e32 v47, v74, v24
	v_fmamk_f16 v53, v78, 0x3b9c, v77
	v_fmac_f16_e32 v77, 0xbb9c, v78
	v_fmamk_f16 v74, v79, 0xbb9c, v12
	v_fmac_f16_e32 v12, 0x3b9c, v79
	v_add_f16_e32 v75, v85, v19
	v_fmamk_f16 v76, v87, 0x3b9c, v84
	v_fmac_f16_e32 v84, 0xbb9c, v87
	v_fmamk_f16 v85, v88, 0xbb9c, v13
	v_fmac_f16_e32 v13, 0x3b9c, v88
	v_add_f16_e32 v89, v92, v93
	v_add_f16_e32 v22, v22, v62
	v_fmac_f16_e32 v53, 0x38b4, v79
	v_fmac_f16_e32 v77, 0xb8b4, v79
	;; [unrolled: 1-line block ×16, first 2 shown]
	v_add_f16_e32 v47, v47, v25
	v_add_f16_e32 v49, v75, v20
	v_fmac_f16_e32 v53, 0x34f2, v80
	v_fmac_f16_e32 v77, 0x34f2, v80
	v_fmac_f16_e32 v74, 0x34f2, v81
	v_fmac_f16_e32 v12, 0x34f2, v81
	v_fmac_f16_e32 v76, 0x34f2, v82
	v_fmac_f16_e32 v84, 0x34f2, v82
	v_fmac_f16_e32 v85, 0x34f2, v89
	v_fmac_f16_e32 v13, 0x34f2, v89
	ds_store_b16 v50, v22
	ds_store_b16 v50, v83 offset:22
	ds_store_b16 v50, v86 offset:44
	ds_store_b16 v50, v2 offset:66
	ds_store_b16 v50, v23 offset:88
	ds_store_b16 v45, v46
	ds_store_b16 v45, v90 offset:22
	ds_store_b16 v45, v91 offset:44
	ds_store_b16 v45, v3 offset:66
	ds_store_b16 v45, v54 offset:88
	;; [unrolled: 5-line block ×4, first 2 shown]
	s_and_saveexec_b32 s1, s0
	s_cbranch_execz .LBB0_23
; %bb.22:
	v_add_f16_e32 v2, v44, v35
	v_add_f16_e32 v12, v36, v37
	v_sub_f16_e32 v23, v40, v39
	v_sub_f16_e32 v22, v41, v42
	;; [unrolled: 1-line block ×3, first 2 shown]
	v_fma_f16 v2, -0.5, v2, v0
	v_fma_f16 v12, -0.5, v12, v0
	v_add_f16_e32 v0, v0, v44
	v_sub_f16_e32 v13, v37, v35
	v_sub_f16_e32 v46, v44, v36
	;; [unrolled: 1-line block ×3, first 2 shown]
	v_fmamk_f16 v52, v23, 0xbb9c, v12
	v_add_f16_e32 v0, v0, v36
	v_fmac_f16_e32 v12, 0x3b9c, v23
	v_fmamk_f16 v47, v22, 0x3b9c, v2
	v_fmac_f16_e32 v2, 0xbb9c, v22
	v_add_f16_e32 v3, v3, v13
	v_add_f16_e32 v0, v0, v37
	;; [unrolled: 1-line block ×3, first 2 shown]
	v_fmac_f16_e32 v12, 0x38b4, v22
	v_fmac_f16_e32 v2, 0x38b4, v23
	;; [unrolled: 1-line block ×4, first 2 shown]
	v_add_f16_e32 v0, v0, v35
	v_fmac_f16_e32 v12, 0x34f2, v13
	v_fmac_f16_e32 v2, 0x34f2, v3
	;; [unrolled: 1-line block ×4, first 2 shown]
	ds_store_b16 v38, v0 offset:2200
	ds_store_b16 v38, v12 offset:2222
	;; [unrolled: 1-line block ×5, first 2 shown]
.LBB0_23:
	s_wait_alu 0xfffe
	s_or_b32 exec_lo, exec_lo, s1
	v_add_f16_e32 v0, v70, v68
	v_sub_f16_e32 v3, v72, v62
	v_add_f16_e32 v23, v69, v71
	v_add_f16_e32 v2, v14, v69
	v_sub_f16_e32 v12, v63, v73
	v_fma_f16 v0, -0.5, v0, v14
	v_sub_f16_e32 v13, v69, v70
	v_fmac_f16_e32 v14, -0.5, v23
	v_add_f16_e32 v23, v15, v64
	v_sub_f16_e32 v22, v71, v68
	v_fmamk_f16 v52, v3, 0xbb9c, v0
	v_fmac_f16_e32 v0, 0x3b9c, v3
	v_fmamk_f16 v53, v12, 0x3b9c, v14
	v_add_f16_e32 v47, v65, v66
	v_fmac_f16_e32 v14, 0xbb9c, v12
	v_fmac_f16_e32 v52, 0xb8b4, v12
	;; [unrolled: 1-line block ×3, first 2 shown]
	v_add_f16_e32 v12, v23, v65
	v_sub_f16_e32 v46, v70, v69
	v_add_f16_e32 v13, v13, v22
	v_sub_f16_e32 v22, v68, v71
	v_fmac_f16_e32 v53, 0xb8b4, v3
	v_fma_f16 v54, -0.5, v47, v15
	v_sub_f16_e32 v23, v61, v58
	v_fmac_f16_e32 v14, 0x38b4, v3
	v_add_f16_e32 v3, v12, v66
	v_add_f16_e32 v12, v64, v67
	v_fmac_f16_e32 v52, 0x34f2, v13
	v_add_f16_e32 v22, v46, v22
	v_fmac_f16_e32 v0, 0x34f2, v13
	v_fmamk_f16 v55, v23, 0xbb9c, v54
	v_sub_f16_e32 v13, v57, v59
	v_sub_f16_e32 v46, v64, v65
	v_sub_f16_e32 v47, v67, v66
	v_fmac_f16_e32 v15, -0.5, v12
	v_fmac_f16_e32 v54, 0x3b9c, v23
	v_fmac_f16_e32 v55, 0xb8b4, v13
	;; [unrolled: 1-line block ×3, first 2 shown]
	v_add_f16_e32 v12, v46, v47
	v_fmamk_f16 v57, v13, 0x3b9c, v15
	v_fmac_f16_e32 v54, 0x38b4, v13
	v_add_f16_e32 v47, v32, v33
	v_fmac_f16_e32 v15, 0xbb9c, v13
	v_add_f16_e32 v13, v16, v30
	v_fmac_f16_e32 v14, 0x34f2, v22
	v_sub_f16_e32 v22, v65, v64
	v_sub_f16_e32 v46, v66, v67
	v_fmac_f16_e32 v55, 0x34f2, v12
	v_fma_f16 v58, -0.5, v47, v16
	v_sub_f16_e32 v25, v56, v25
	v_fmac_f16_e32 v54, 0x34f2, v12
	v_add_f16_e32 v12, v13, v32
	v_fmac_f16_e32 v57, 0xb8b4, v23
	v_add_f16_e32 v22, v22, v46
	v_fmac_f16_e32 v15, 0x38b4, v23
	v_fmamk_f16 v56, v25, 0xbb9c, v58
	v_sub_f16_e32 v13, v51, v24
	v_sub_f16_e32 v23, v30, v32
	;; [unrolled: 1-line block ×3, first 2 shown]
	v_fmac_f16_e32 v58, 0x3b9c, v25
	v_add_f16_e32 v46, v30, v34
	v_add_f16_e32 v12, v12, v33
	v_fmac_f16_e32 v56, 0xb8b4, v13
	v_add_f16_e32 v23, v23, v24
	v_fmac_f16_e32 v58, 0x38b4, v13
	v_fmac_f16_e32 v16, -0.5, v46
	v_add_f16_e32 v59, v12, v34
	v_add_f16_e32 v12, v28, v29
	v_fmac_f16_e32 v57, 0x34f2, v22
	v_fmac_f16_e32 v15, 0x34f2, v22
	;; [unrolled: 1-line block ×4, first 2 shown]
	v_fmamk_f16 v60, v13, 0x3b9c, v16
	v_sub_f16_e32 v22, v32, v30
	v_sub_f16_e32 v23, v33, v34
	v_fmac_f16_e32 v16, 0xbb9c, v13
	v_fma_f16 v61, -0.5, v12, v17
	v_sub_f16_e32 v12, v21, v20
	v_add_f16_e32 v21, v27, v26
	v_add_f16_e32 v13, v17, v27
	v_fmac_f16_e32 v60, 0xb8b4, v25
	v_add_f16_e32 v20, v22, v23
	v_fmac_f16_e32 v16, 0x38b4, v25
	v_sub_f16_e32 v18, v18, v19
	v_fmac_f16_e32 v17, -0.5, v21
	v_add_f16_e32 v13, v13, v28
	v_fmamk_f16 v62, v12, 0xbb9c, v61
	v_fmac_f16_e32 v60, 0x34f2, v20
	v_fmac_f16_e32 v16, 0x34f2, v20
	v_sub_f16_e32 v19, v27, v28
	v_sub_f16_e32 v20, v26, v29
	v_fmac_f16_e32 v61, 0x3b9c, v12
	v_fmamk_f16 v63, v18, 0x3b9c, v17
	v_sub_f16_e32 v21, v28, v27
	v_sub_f16_e32 v22, v29, v26
	v_fmac_f16_e32 v17, 0xbb9c, v18
	v_add_f16_e32 v13, v13, v29
	v_fmac_f16_e32 v62, 0xb8b4, v18
	v_add_f16_e32 v19, v19, v20
	v_fmac_f16_e32 v61, 0x38b4, v18
	v_fmac_f16_e32 v63, 0xb8b4, v12
	v_add_f16_e32 v18, v21, v22
	v_fmac_f16_e32 v17, 0x38b4, v12
	v_add_f16_e32 v64, v13, v26
	v_fmac_f16_e32 v62, 0x34f2, v19
	v_fmac_f16_e32 v61, 0x34f2, v19
	;; [unrolled: 1-line block ×4, first 2 shown]
	global_wb scope:SCOPE_SE
	s_wait_dscnt 0x0
	s_barrier_signal -1
	s_barrier_wait -1
	global_inv scope:SCOPE_SE
	v_lshl_add_u32 v12, v6, 1, 0
	ds_load_u16 v25, v8
	ds_load_u16 v22, v8 offset:110
	ds_load_u16 v30, v8 offset:440
	;; [unrolled: 1-line block ×20, first 2 shown]
	v_add_f16_e32 v2, v2, v70
	v_add_f16_e32 v3, v3, v67
	global_wb scope:SCOPE_SE
	s_wait_dscnt 0x0
	s_barrier_signal -1
	s_barrier_wait -1
	v_add_f16_e32 v2, v2, v68
	global_inv scope:SCOPE_SE
	v_add_f16_e32 v2, v2, v71
	ds_store_b16 v50, v2
	ds_store_b16 v50, v52 offset:22
	ds_store_b16 v50, v53 offset:44
	ds_store_b16 v50, v14 offset:66
	ds_store_b16 v50, v0 offset:88
	ds_store_b16 v45, v3
	ds_store_b16 v45, v55 offset:22
	ds_store_b16 v45, v57 offset:44
	ds_store_b16 v45, v15 offset:66
	ds_store_b16 v45, v54 offset:88
	;; [unrolled: 5-line block ×4, first 2 shown]
	s_and_saveexec_b32 s1, s0
	s_cbranch_execz .LBB0_25
; %bb.24:
	v_add_f16_e32 v0, v41, v42
	v_add_f16_e32 v15, v40, v39
	v_add_f16_e32 v2, v1, v40
	v_sub_f16_e32 v3, v44, v35
	v_sub_f16_e32 v14, v36, v37
	v_fma_f16 v0, -0.5, v0, v1
	v_fmac_f16_e32 v1, -0.5, v15
	v_add_f16_e32 v2, v2, v41
	v_sub_f16_e32 v16, v40, v41
	v_sub_f16_e32 v17, v39, v42
	v_fmamk_f16 v15, v3, 0xbb9c, v0
	v_sub_f16_e32 v35, v41, v40
	v_sub_f16_e32 v36, v42, v39
	v_fmamk_f16 v37, v14, 0x3b9c, v1
	v_fmac_f16_e32 v1, 0xbb9c, v14
	v_fmac_f16_e32 v0, 0x3b9c, v3
	v_add_f16_e32 v2, v2, v42
	v_fmac_f16_e32 v15, 0xb8b4, v14
	v_add_f16_e32 v16, v16, v17
	;; [unrolled: 2-line block ×3, first 2 shown]
	v_fmac_f16_e32 v1, 0x38b4, v3
	v_fmac_f16_e32 v0, 0x38b4, v14
	v_add_f16_e32 v2, v2, v39
	v_fmac_f16_e32 v15, 0x34f2, v16
	v_fmac_f16_e32 v37, 0x34f2, v17
	;; [unrolled: 1-line block ×4, first 2 shown]
	ds_store_b16 v38, v2 offset:2200
	ds_store_b16 v38, v15 offset:2222
	;; [unrolled: 1-line block ×5, first 2 shown]
.LBB0_25:
	s_wait_alu 0xfffe
	s_or_b32 exec_lo, exec_lo, s1
	v_mul_u32_u24_e32 v0, 6, v6
	global_wb scope:SCOPE_SE
	s_wait_dscnt 0x0
	s_barrier_signal -1
	s_barrier_wait -1
	global_inv scope:SCOPE_SE
	v_lshlrev_b32_e32 v0, 2, v0
	s_clause 0x1
	global_load_b128 v[35:38], v0, s[4:5] offset:176
	global_load_b64 v[15:16], v0, s[4:5] offset:192
	v_mul_lo_u16 v0, 0x95, v31
	s_delay_alu instid0(VALU_DEP_1) | instskip(NEXT) | instid1(VALU_DEP_1)
	v_lshrrev_b16 v0, 13, v0
	v_mul_lo_u16 v0, v0, 55
	s_delay_alu instid0(VALU_DEP_1) | instskip(NEXT) | instid1(VALU_DEP_1)
	v_sub_nc_u16 v0, v10, v0
	v_and_b32_e32 v17, 0xff, v0
	s_delay_alu instid0(VALU_DEP_1) | instskip(SKIP_1) | instid1(VALU_DEP_2)
	v_mul_u32_u24_e32 v0, 6, v17
	v_lshl_add_u32 v64, v17, 1, 0
	v_lshlrev_b32_e32 v14, 2, v0
	s_clause 0x1
	global_load_b128 v[0:3], v14, s[4:5] offset:176
	global_load_b64 v[39:40], v14, s[4:5] offset:192
	ds_load_u16 v31, v12 offset:660
	ds_load_u16 v41, v8
	ds_load_u16 v42, v8 offset:110
	ds_load_u16 v43, v8 offset:440
	;; [unrolled: 1-line block ×19, first 2 shown]
	global_wb scope:SCOPE_SE
	s_wait_loadcnt_dscnt 0x0
	s_barrier_signal -1
	s_barrier_wait -1
	global_inv scope:SCOPE_SE
	v_lshrrev_b32_e32 v17, 16, v35
	v_lshrrev_b32_e32 v65, 16, v36
	;; [unrolled: 1-line block ×6, first 2 shown]
	v_mul_f16_e32 v70, v56, v17
	v_mul_f16_e32 v71, v47, v17
	;; [unrolled: 1-line block ×24, first 2 shown]
	v_fma_f16 v47, v47, v35, -v70
	v_fmac_f16_e32 v71, v56, v35
	v_fma_f16 v51, v51, v36, -v72
	v_fmac_f16_e32 v73, v31, v36
	v_fmac_f16_e32 v75, v44, v37
	v_fma_f16 v34, v34, v15, -v78
	v_fmac_f16_e32 v79, v57, v15
	v_fma_f16 v44, v49, v16, -v80
	;; [unrolled: 2-line block ×7, first 2 shown]
	v_fma_f16 v33, v46, v38, -v76
	v_fmac_f16_e32 v77, v59, v38
	v_fma_f16 v29, v29, v37, -v84
	v_fmac_f16_e32 v66, v45, v37
	;; [unrolled: 2-line block ×3, first 2 shown]
	v_add_f16_e32 v16, v47, v44
	v_add_f16_e32 v26, v71, v81
	v_sub_f16_e32 v35, v47, v44
	v_add_f16_e32 v37, v51, v34
	v_add_f16_e32 v38, v73, v79
	;; [unrolled: 1-line block ×4, first 2 shown]
	v_sub_f16_e32 v15, v30, v15
	v_add_f16_e32 v30, v32, v27
	v_add_f16_e32 v48, v65, v68
	v_sub_f16_e32 v36, v71, v81
	v_sub_f16_e32 v34, v51, v34
	;; [unrolled: 1-line block ×3, first 2 shown]
	v_add_f16_e32 v44, v31, v33
	v_add_f16_e32 v45, v75, v77
	v_sub_f16_e32 v31, v33, v31
	v_sub_f16_e32 v33, v77, v75
	;; [unrolled: 1-line block ×5, first 2 shown]
	v_add_f16_e32 v49, v29, v28
	v_add_f16_e32 v50, v66, v67
	v_sub_f16_e32 v28, v28, v29
	v_sub_f16_e32 v29, v67, v66
	v_add_f16_e32 v51, v37, v16
	v_add_f16_e32 v52, v38, v26
	;; [unrolled: 1-line block ×4, first 2 shown]
	v_sub_f16_e32 v54, v37, v16
	v_sub_f16_e32 v56, v38, v26
	;; [unrolled: 1-line block ×6, first 2 shown]
	v_add_f16_e32 v57, v31, v34
	v_add_f16_e32 v59, v33, v43
	v_sub_f16_e32 v62, v31, v34
	v_sub_f16_e32 v65, v33, v43
	;; [unrolled: 1-line block ×10, first 2 shown]
	v_add_f16_e32 v70, v28, v27
	v_add_f16_e32 v71, v29, v32
	v_sub_f16_e32 v72, v28, v27
	v_sub_f16_e32 v73, v29, v32
	;; [unrolled: 1-line block ×4, first 2 shown]
	v_lshrrev_b32_e32 v74, 16, v0
	v_lshrrev_b32_e32 v75, 16, v1
	;; [unrolled: 1-line block ×6, first 2 shown]
	v_add_f16_e32 v44, v44, v51
	v_add_f16_e32 v45, v45, v52
	;; [unrolled: 1-line block ×4, first 2 shown]
	v_sub_f16_e32 v31, v35, v31
	v_sub_f16_e32 v33, v36, v33
	;; [unrolled: 1-line block ×4, first 2 shown]
	v_add_f16_e32 v35, v57, v35
	v_add_f16_e32 v36, v59, v36
	v_mul_f16_e32 v16, 0x3a52, v16
	v_mul_f16_e32 v26, 0x3a52, v26
	;; [unrolled: 1-line block ×8, first 2 shown]
	v_add_f16_e32 v15, v70, v15
	v_add_f16_e32 v17, v71, v17
	v_mul_f16_e32 v46, 0x3a52, v46
	v_mul_f16_e32 v47, 0x3a52, v47
	;; [unrolled: 1-line block ×18, first 2 shown]
	v_add_f16_e32 v25, v25, v44
	v_add_f16_e32 v41, v41, v45
	;; [unrolled: 1-line block ×4, first 2 shown]
	v_mul_f16_e32 v78, v24, v78
	v_mul_f16_e32 v79, v21, v79
	v_fmamk_f16 v37, v37, 0x2b26, v16
	v_fmamk_f16 v38, v38, 0x2b26, v26
	v_fma_f16 v51, v54, 0x39e0, -v51
	v_fma_f16 v52, v56, 0x39e0, -v52
	;; [unrolled: 1-line block ×4, first 2 shown]
	v_fmamk_f16 v54, v31, 0x3574, v57
	v_fmamk_f16 v56, v33, 0x3574, v59
	v_fma_f16 v34, v34, 0x3b00, -v57
	v_fma_f16 v43, v43, 0x3b00, -v59
	;; [unrolled: 1-line block ×4, first 2 shown]
	v_fmamk_f16 v30, v30, 0x2b26, v46
	v_fmamk_f16 v48, v48, 0x2b26, v47
	v_fma_f16 v57, v68, 0x39e0, -v66
	v_fma_f16 v59, v69, 0x39e0, -v67
	;; [unrolled: 1-line block ×3, first 2 shown]
	v_fmamk_f16 v62, v28, 0x3574, v70
	v_fmamk_f16 v65, v29, 0x3574, v71
	v_fma_f16 v27, v27, 0x3b00, -v70
	v_fma_f16 v32, v32, 0x3b00, -v71
	;; [unrolled: 1-line block ×5, first 2 shown]
	v_fmac_f16_e32 v74, v55, v0
	v_fma_f16 v0, v18, v1, -v81
	v_fmac_f16_e32 v75, v53, v1
	v_fma_f16 v1, v23, v2, -v82
	;; [unrolled: 2-line block ×4, first 2 shown]
	v_fma_f16 v18, v21, v40, -v85
	v_fmamk_f16 v19, v44, 0xbcab, v25
	v_fmamk_f16 v21, v45, 0xbcab, v41
	;; [unrolled: 1-line block ×4, first 2 shown]
	v_fmac_f16_e32 v78, v63, v39
	v_fmac_f16_e32 v79, v61, v40
	v_fma_f16 v46, v68, 0xb9e0, -v46
	v_fmac_f16_e32 v54, 0x370e, v35
	v_fmac_f16_e32 v56, 0x370e, v36
	;; [unrolled: 1-line block ×12, first 2 shown]
	v_add_f16_e32 v15, v37, v19
	v_add_f16_e32 v17, v38, v21
	v_add_f16_e32 v35, v51, v19
	v_add_f16_e32 v36, v52, v21
	v_add_f16_e32 v16, v16, v19
	v_add_f16_e32 v19, v26, v21
	v_add_f16_e32 v21, v30, v23
	v_add_f16_e32 v26, v48, v24
	v_add_f16_e32 v30, v57, v23
	v_add_f16_e32 v37, v59, v24
	v_add_f16_e32 v24, v47, v24
	v_add_f16_e32 v38, v20, v18
	v_add_f16_e32 v40, v0, v3
	v_add_f16_e32 v39, v74, v79
	v_add_f16_e32 v44, v75, v78
	v_add_f16_e32 v23, v46, v23
	v_sub_f16_e32 v0, v0, v3
	v_sub_f16_e32 v3, v75, v78
	v_add_f16_e32 v45, v1, v2
	v_sub_f16_e32 v1, v2, v1
	v_sub_f16_e32 v2, v77, v76
	;; [unrolled: 1-line block ×3, first 2 shown]
	v_add_f16_e32 v49, v33, v16
	v_sub_f16_e32 v51, v35, v43
	v_add_f16_e32 v35, v43, v35
	v_sub_f16_e32 v16, v16, v33
	;; [unrolled: 2-line block ×3, first 2 shown]
	v_sub_f16_e32 v53, v30, v32
	v_add_f16_e32 v54, v27, v37
	v_add_f16_e32 v30, v32, v30
	v_sub_f16_e32 v32, v37, v27
	v_add_f16_e32 v37, v28, v24
	v_add_f16_e32 v24, v40, v38
	v_sub_f16_e32 v18, v20, v18
	v_sub_f16_e32 v20, v74, v79
	v_add_f16_e32 v46, v76, v77
	v_add_f16_e32 v52, v34, v36
	v_sub_f16_e32 v34, v36, v34
	v_sub_f16_e32 v36, v26, v62
	v_add_f16_e32 v55, v62, v26
	v_add_f16_e32 v26, v44, v39
	;; [unrolled: 1-line block ×3, first 2 shown]
	v_sub_f16_e32 v50, v19, v31
	v_add_f16_e32 v31, v31, v19
	v_sub_f16_e32 v15, v15, v56
	v_add_f16_e32 v19, v29, v23
	v_sub_f16_e32 v23, v23, v29
	v_sub_f16_e32 v29, v38, v45
	v_add_f16_e32 v56, v2, v3
	v_sub_f16_e32 v58, v2, v3
	v_add_f16_e32 v24, v45, v24
	v_sub_f16_e32 v27, v40, v38
	v_sub_f16_e32 v28, v44, v39
	v_sub_f16_e32 v38, v39, v46
	v_sub_f16_e32 v39, v45, v40
	v_sub_f16_e32 v40, v46, v44
	v_add_f16_e32 v44, v1, v0
	v_sub_f16_e32 v57, v1, v0
	v_sub_f16_e32 v0, v0, v18
	;; [unrolled: 1-line block ×3, first 2 shown]
	v_add_f16_e32 v26, v46, v26
	v_sub_f16_e32 v2, v20, v2
	v_add_f16_e32 v20, v56, v20
	v_mul_f16_e32 v29, 0x3a52, v29
	v_mul_f16_e32 v56, 0xb846, v58
	v_add_f16_e32 v13, v13, v24
	v_sub_f16_e32 v1, v18, v1
	v_mul_f16_e32 v46, 0xb846, v57
	v_mul_f16_e32 v57, 0x3b00, v0
	;; [unrolled: 1-line block ×3, first 2 shown]
	v_add_f16_e32 v18, v44, v18
	v_mul_f16_e32 v44, 0x2b26, v39
	v_add_f16_e32 v17, v65, v21
	v_sub_f16_e32 v21, v21, v65
	v_mul_f16_e32 v38, 0x3a52, v38
	v_mul_f16_e32 v45, 0x2b26, v40
	ds_store_b16 v8, v25
	ds_store_b16 v8, v47 offset:110
	ds_store_b16 v8, v49 offset:220
	;; [unrolled: 1-line block ×13, first 2 shown]
	v_add_f16_e32 v30, v14, v26
	v_fmamk_f16 v14, v39, 0x2b26, v29
	v_fmamk_f16 v23, v2, 0x3574, v56
	;; [unrolled: 1-line block ×3, first 2 shown]
	v_fma_f16 v19, v27, 0xb9e0, -v29
	v_fmamk_f16 v22, v1, 0x3574, v46
	v_fma_f16 v0, v0, 0x3b00, -v46
	v_fma_f16 v1, v1, 0xb574, -v57
	;; [unrolled: 1-line block ×7, first 2 shown]
	v_fmamk_f16 v25, v26, 0xbcab, v30
	v_fmamk_f16 v15, v40, 0x2b26, v38
	v_fmac_f16_e32 v23, 0x370e, v20
	v_add_f16_e32 v14, v14, v24
	v_fmac_f16_e32 v22, 0x370e, v18
	v_fmac_f16_e32 v0, 0x370e, v18
	;; [unrolled: 1-line block ×4, first 2 shown]
	v_add_f16_e32 v18, v19, v24
	v_fmac_f16_e32 v3, 0x370e, v20
	v_add_f16_e32 v16, v16, v24
	v_add_f16_e32 v19, v21, v25
	;; [unrolled: 1-line block ×6, first 2 shown]
	v_sub_f16_e32 v24, v16, v3
	v_sub_f16_e32 v38, v19, v1
	v_add_f16_e32 v39, v0, v17
	v_add_f16_e32 v3, v3, v16
	v_sub_f16_e32 v40, v17, v0
	v_sub_f16_e32 v0, v18, v2
	v_add_f16_e32 v44, v1, v19
	v_sub_f16_e32 v1, v14, v23
	v_sub_f16_e32 v35, v15, v22
	v_add_f16_e32 v45, v22, v15
	ds_store_b16 v64, v13 offset:1540
	ds_store_b16 v64, v20 offset:1650
	;; [unrolled: 1-line block ×7, first 2 shown]
	global_wb scope:SCOPE_SE
	s_wait_dscnt 0x0
	s_barrier_signal -1
	s_barrier_wait -1
	global_inv scope:SCOPE_SE
	ds_load_u16 v0, v8
	ds_load_u16 v1, v8 offset:110
	ds_load_u16 v2, v8 offset:220
	ds_load_u16 v3, v8 offset:880
	ds_load_u16 v17, v8 offset:990
	ds_load_u16 v21, v8 offset:1100
	ds_load_u16 v13, v8 offset:770
	ds_load_u16 v16, v8 offset:330
	ds_load_u16 v14, v8 offset:1650
	ds_load_u16 v19, v8 offset:1760
	ds_load_u16 v22, v8 offset:1870
	ds_load_u16 v24, v8 offset:1980
	ds_load_u16 v25, v8 offset:1210
	ds_load_u16 v26, v8 offset:1320
	ds_load_u16 v27, v8 offset:2090
	ds_load_u16 v23, v12 offset:550
	ds_load_u16 v18, v12 offset:660
	ds_load_u16 v15, v8 offset:1540
	ds_load_u16 v28, v8 offset:1430
	ds_load_u16 v20, v12 offset:440
	ds_load_u16 v29, v8 offset:2200
	global_wb scope:SCOPE_SE
	s_wait_dscnt 0x0
	s_barrier_signal -1
	s_barrier_wait -1
	global_inv scope:SCOPE_SE
	ds_store_b16 v8, v41
	ds_store_b16 v8, v48 offset:110
	ds_store_b16 v8, v50 offset:220
	;; [unrolled: 1-line block ×20, first 2 shown]
	global_wb scope:SCOPE_SE
	s_wait_dscnt 0x0
	s_barrier_signal -1
	s_barrier_wait -1
	global_inv scope:SCOPE_SE
	s_and_saveexec_b32 s0, vcc_lo
	s_cbranch_execz .LBB0_27
; %bb.26:
	v_add_nc_u32_e32 v45, 0x14a, v6
	s_delay_alu instid0(VALU_DEP_1) | instskip(SKIP_1) | instid1(VALU_DEP_2)
	v_dual_mov_b32 v31, 0 :: v_dual_lshlrev_b32 v30, 1, v45
	v_lshlrev_b32_e32 v32, 1, v6
	v_lshlrev_b64_e32 v[33:34], 2, v[30:31]
	s_delay_alu instid0(VALU_DEP_2) | instskip(NEXT) | instid1(VALU_DEP_1)
	v_add_nc_u32_e32 v30, 0x226, v32
	v_lshlrev_b64_e32 v[35:36], 2, v[30:31]
	s_delay_alu instid0(VALU_DEP_3) | instskip(SKIP_1) | instid1(VALU_DEP_4)
	v_add_co_u32 v33, vcc_lo, s4, v33
	s_wait_alu 0xfffd
	v_add_co_ci_u32_e32 v34, vcc_lo, s5, v34, vcc_lo
	v_lshlrev_b32_e32 v30, 1, v7
	global_load_b64 v[37:38], v[33:34], off offset:1496
	v_add_co_u32 v33, vcc_lo, s4, v35
	s_wait_alu 0xfffd
	v_add_co_ci_u32_e32 v34, vcc_lo, s5, v36, vcc_lo
	v_lshlrev_b64_e32 v[35:36], 2, v[30:31]
	v_lshlrev_b32_e32 v30, 1, v11
	global_load_b64 v[39:40], v[33:34], off offset:1496
	v_lshlrev_b64_e32 v[41:42], 2, v[30:31]
	v_lshlrev_b32_e32 v30, 1, v10
	v_add_co_u32 v33, vcc_lo, s4, v35
	s_wait_alu 0xfffd
	v_add_co_ci_u32_e32 v34, vcc_lo, s5, v36, vcc_lo
	s_delay_alu instid0(VALU_DEP_3) | instskip(SKIP_4) | instid1(VALU_DEP_4)
	v_lshlrev_b64_e32 v[10:11], 2, v[30:31]
	v_add_co_u32 v41, vcc_lo, s4, v41
	s_wait_alu 0xfffd
	v_add_co_ci_u32_e32 v42, vcc_lo, s5, v42, vcc_lo
	v_lshlrev_b32_e32 v30, 1, v9
	v_add_co_u32 v10, vcc_lo, s4, v10
	s_wait_alu 0xfffd
	v_add_co_ci_u32_e32 v11, vcc_lo, s5, v11, vcc_lo
	s_clause 0x1
	global_load_b64 v[34:35], v[33:34], off offset:1496
	global_load_b64 v[41:42], v[41:42], off offset:1496
	v_lshlrev_b64_e32 v[43:44], 2, v[30:31]
	global_load_b64 v[10:11], v[10:11], off offset:1496
	v_mov_b32_e32 v33, v31
	v_mul_hi_u32 v9, 0x551c979b, v7
	v_mul_hi_u32 v30, 0x551c979b, v45
	v_mov_b32_e32 v7, v31
	v_add_co_u32 v43, vcc_lo, s4, v43
	v_lshlrev_b64_e32 v[32:33], 2, v[32:33]
	s_wait_alu 0xfffd
	v_add_co_ci_u32_e32 v44, vcc_lo, s5, v44, vcc_lo
	v_lshrrev_b32_e32 v9, 7, v9
	v_lshlrev_b64_e32 v[6:7], 2, v[6:7]
	s_delay_alu instid0(VALU_DEP_4)
	v_add_co_u32 v32, vcc_lo, s4, v32
	s_wait_alu 0xfffd
	v_add_co_ci_u32_e32 v33, vcc_lo, s5, v33, vcc_lo
	s_clause 0x1
	global_load_b64 v[43:44], v[43:44], off offset:1496
	global_load_b64 v[32:33], v[32:33], off offset:1496
	ds_load_u16 v36, v12 offset:660
	ds_load_u16 v46, v12 offset:550
	ds_load_u16 v12, v12 offset:440
	ds_load_u16 v47, v8 offset:2200
	ds_load_u16 v48, v8 offset:2090
	ds_load_u16 v49, v8 offset:1980
	ds_load_u16 v50, v8 offset:1870
	ds_load_u16 v51, v8 offset:1760
	ds_load_u16 v52, v8 offset:1650
	ds_load_u16 v53, v8 offset:1540
	ds_load_u16 v54, v8 offset:1430
	ds_load_u16 v55, v8 offset:1320
	ds_load_u16 v56, v8 offset:1210
	ds_load_u16 v57, v8 offset:1100
	ds_load_u16 v58, v8 offset:990
	ds_load_u16 v59, v8 offset:880
	ds_load_u16 v60, v8 offset:770
	ds_load_u16 v45, v8 offset:330
	ds_load_u16 v61, v8 offset:220
	ds_load_u16 v62, v8 offset:110
	ds_load_u16 v63, v8
	v_lshrrev_b32_e32 v8, 7, v30
	v_mul_u32_u24_e32 v30, 0x302, v9
	v_add_co_u32 v9, vcc_lo, s8, v4
	s_wait_alu 0xfffd
	v_add_co_ci_u32_e32 v64, vcc_lo, s9, v5, vcc_lo
	s_delay_alu instid0(VALU_DEP_3) | instskip(SKIP_4) | instid1(VALU_DEP_3)
	v_lshlrev_b64_e32 v[4:5], 2, v[30:31]
	v_mul_u32_u24_e32 v30, 0x302, v8
	v_add_co_u32 v6, vcc_lo, v9, v6
	s_wait_alu 0xfffd
	v_add_co_ci_u32_e32 v7, vcc_lo, v64, v7, vcc_lo
	v_lshlrev_b64_e32 v[8:9], 2, v[30:31]
	s_delay_alu instid0(VALU_DEP_3) | instskip(SKIP_1) | instid1(VALU_DEP_3)
	v_add_co_u32 v4, vcc_lo, v6, v4
	s_wait_alu 0xfffd
	v_add_co_ci_u32_e32 v5, vcc_lo, v7, v5, vcc_lo
	s_delay_alu instid0(VALU_DEP_3)
	v_add_co_u32 v8, vcc_lo, v6, v8
	s_wait_alu 0xfffd
	v_add_co_ci_u32_e32 v9, vcc_lo, v7, v9, vcc_lo
	s_wait_loadcnt 0x6
	v_lshrrev_b32_e32 v30, 16, v37
	v_lshrrev_b32_e32 v31, 16, v38
	s_delay_alu instid0(VALU_DEP_2) | instskip(NEXT) | instid1(VALU_DEP_2)
	v_mul_f16_e32 v65, v28, v30
	v_mul_f16_e32 v64, v29, v31
	s_wait_dscnt 0xa
	v_mul_f16_e32 v30, v54, v30
	v_mul_f16_e32 v31, v47, v31
	s_wait_loadcnt 0x5
	v_lshrrev_b32_e32 v66, 16, v39
	v_lshrrev_b32_e32 v67, 16, v40
	v_fmac_f16_e32 v64, v47, v38
	v_fmac_f16_e32 v65, v54, v37
	v_fma_f16 v28, v28, v37, -v30
	v_fma_f16 v29, v29, v38, -v31
	v_mul_f16_e32 v30, v26, v66
	v_mul_f16_e32 v31, v27, v67
	s_wait_dscnt 0x9
	v_mul_f16_e32 v37, v55, v66
	v_mul_f16_e32 v38, v48, v67
	v_add_f16_e32 v66, v36, v65
	v_add_f16_e32 v67, v18, v28
	v_sub_f16_e32 v68, v28, v29
	v_add_f16_e32 v28, v29, v28
	v_fmac_f16_e32 v30, v55, v39
	v_fmac_f16_e32 v31, v48, v40
	v_fma_f16 v26, v26, v39, -v37
	v_fma_f16 v27, v27, v40, -v38
	s_wait_loadcnt 0x4
	v_lshrrev_b32_e32 v47, 16, v34
	v_lshrrev_b32_e32 v54, 16, v35
	s_wait_loadcnt 0x3
	v_lshrrev_b32_e32 v48, 16, v42
	v_add_f16_e32 v69, v64, v65
	v_sub_f16_e32 v65, v65, v64
	s_wait_dscnt 0x8
	v_mul_f16_e32 v37, v56, v47
	v_mul_f16_e32 v38, v49, v54
	;; [unrolled: 1-line block ×4, first 2 shown]
	v_lshrrev_b32_e32 v47, 16, v41
	v_add_f16_e32 v54, v64, v66
	v_fmac_f16_e32 v18, -0.5, v28
	v_add_f16_e32 v28, v30, v31
	v_sub_f16_e32 v55, v26, v27
	v_add_f16_e32 v64, v26, v27
	v_sub_f16_e32 v66, v30, v31
	v_add_f16_e32 v30, v46, v30
	v_add_f16_e32 v26, v23, v26
	v_fma_f16 v25, v25, v34, -v37
	v_fma_f16 v24, v24, v35, -v38
	v_fmac_f16_e32 v39, v34, v56
	v_fmac_f16_e32 v40, v35, v49
	s_wait_dscnt 0x7
	v_mul_f16_e32 v34, v57, v47
	v_mul_f16_e32 v35, v50, v48
	v_mul_f16_e32 v37, v21, v47
	v_mul_f16_e32 v38, v22, v48
	s_wait_loadcnt 0x2
	v_lshrrev_b32_e32 v47, 16, v10
	v_lshrrev_b32_e32 v48, 16, v11
	v_fmac_f16_e32 v36, -0.5, v69
	v_fma_f16 v28, -0.5, v28, v46
	v_fma_f16 v23, -0.5, v64, v23
	v_add_f16_e32 v30, v30, v31
	v_add_f16_e32 v26, v26, v27
	v_sub_f16_e32 v27, v25, v24
	v_add_f16_e32 v31, v39, v40
	v_add_f16_e32 v46, v25, v24
	v_sub_f16_e32 v64, v39, v40
	v_add_f16_e32 v39, v39, v12
	v_add_f16_e32 v25, v20, v25
	v_fma_f16 v21, v21, v41, -v34
	v_fma_f16 v22, v22, v42, -v35
	v_fmac_f16_e32 v37, v41, v57
	v_fmac_f16_e32 v38, v42, v50
	s_wait_dscnt 0x6
	v_mul_f16_e32 v34, v58, v47
	v_mul_f16_e32 v35, v51, v48
	v_mul_f16_e32 v41, v17, v47
	v_mul_f16_e32 v42, v19, v48
	s_wait_loadcnt 0x1
	v_lshrrev_b32_e32 v47, 16, v43
	v_lshrrev_b32_e32 v48, 16, v44
	s_wait_loadcnt 0x0
	v_lshrrev_b32_e32 v50, 16, v32
	v_lshrrev_b32_e32 v57, 16, v33
	v_fmamk_f16 v49, v68, 0x3aee, v36
	v_fmac_f16_e32 v36, 0xbaee, v68
	v_fmamk_f16 v56, v65, 0xbaee, v18
	v_fmac_f16_e32 v18, 0x3aee, v65
	v_fma_f16 v12, -0.5, v31, v12
	v_fma_f16 v20, -0.5, v46, v20
	v_add_f16_e32 v31, v40, v39
	v_add_f16_e32 v24, v25, v24
	v_sub_f16_e32 v25, v21, v22
	v_add_f16_e32 v39, v37, v38
	v_add_f16_e32 v40, v21, v22
	v_sub_f16_e32 v46, v37, v38
	s_wait_dscnt 0x3
	v_add_f16_e32 v37, v37, v45
	v_add_f16_e32 v21, v16, v21
	v_fma_f16 v17, v17, v10, -v34
	v_fma_f16 v19, v19, v11, -v35
	v_fmac_f16_e32 v41, v10, v58
	v_fmac_f16_e32 v42, v11, v51
	v_mul_f16_e32 v10, v59, v47
	v_mul_f16_e32 v11, v52, v48
	;; [unrolled: 1-line block ×8, first 2 shown]
	v_add_f16_e32 v29, v29, v67
	v_pack_b32_f16 v18, v18, v36
	v_fmamk_f16 v36, v27, 0x3aee, v12
	v_fmac_f16_e32 v12, 0xbaee, v27
	v_fma_f16 v27, -0.5, v39, v45
	v_fma_f16 v16, -0.5, v40, v16
	v_add_f16_e32 v37, v38, v37
	v_add_f16_e32 v21, v21, v22
	v_sub_f16_e32 v22, v17, v19
	v_add_f16_e32 v38, v41, v42
	v_add_f16_e32 v39, v17, v19
	v_sub_f16_e32 v40, v41, v42
	s_wait_dscnt 0x2
	v_add_f16_e32 v41, v41, v61
	v_add_f16_e32 v17, v2, v17
	v_fma_f16 v3, v3, v43, -v10
	v_fma_f16 v10, v14, v44, -v11
	v_fmac_f16_e32 v34, v43, v59
	v_fmac_f16_e32 v35, v44, v52
	v_fma_f16 v11, v13, v32, -v47
	v_fma_f16 v13, v15, v33, -v48
	v_fmac_f16_e32 v50, v32, v60
	v_fmac_f16_e32 v51, v33, v53
	v_pack_b32_f16 v29, v29, v54
	v_fmamk_f16 v54, v55, 0xbaee, v28
	v_fmamk_f16 v65, v66, 0x3aee, v23
	v_fmac_f16_e32 v28, 0x3aee, v55
	v_fmac_f16_e32 v23, 0xbaee, v66
	v_pack_b32_f16 v26, v26, v30
	v_pack_b32_f16 v30, v56, v49
	v_fmamk_f16 v49, v64, 0xbaee, v20
	v_fmac_f16_e32 v20, 0x3aee, v64
	v_pack_b32_f16 v14, v24, v31
	v_fmamk_f16 v24, v25, 0x3aee, v27
	v_fmac_f16_e32 v27, 0xbaee, v25
	v_fma_f16 v25, -0.5, v38, v61
	v_add_f16_e32 v31, v42, v41
	v_add_f16_e32 v17, v17, v19
	v_sub_f16_e32 v19, v3, v10
	v_add_f16_e32 v32, v34, v35
	v_add_f16_e32 v33, v3, v10
	;; [unrolled: 1-line block ×5, first 2 shown]
	v_pack_b32_f16 v23, v23, v28
	v_fmamk_f16 v28, v46, 0xbaee, v16
	v_fma_f16 v2, -0.5, v39, v2
	v_sub_f16_e32 v39, v11, v13
	v_sub_f16_e32 v43, v50, v51
	v_add_f16_e32 v11, v0, v11
	v_pack_b32_f16 v12, v20, v12
	v_pack_b32_f16 v20, v49, v36
	v_fmamk_f16 v36, v22, 0x3aee, v25
	v_fmac_f16_e32 v25, 0xbaee, v22
	s_wait_dscnt 0x1
	v_fma_f16 v22, -0.5, v32, v62
	v_add_f16_e32 v3, v3, v10
	s_wait_dscnt 0x0
	v_fma_f16 v10, -0.5, v41, v63
	v_fma_f16 v0, -0.5, v42, v0
	v_fmac_f16_e32 v16, 0x3aee, v46
	v_sub_f16_e32 v38, v34, v35
	v_fma_f16 v1, -0.5, v33, v1
	v_add_f16_e32 v34, v34, v62
	v_add_f16_e32 v44, v50, v63
	;; [unrolled: 1-line block ×3, first 2 shown]
	v_pack_b32_f16 v13, v17, v31
	v_pack_b32_f16 v17, v28, v24
	v_fmamk_f16 v24, v19, 0x3aee, v22
	v_fmac_f16_e32 v22, 0xbaee, v19
	v_fmamk_f16 v19, v39, 0x3aee, v10
	v_fmamk_f16 v28, v43, 0xbaee, v0
	v_fmac_f16_e32 v10, 0xbaee, v39
	v_fmac_f16_e32 v0, 0x3aee, v43
	v_pack_b32_f16 v16, v16, v27
	v_fmamk_f16 v27, v38, 0xbaee, v1
	v_fmac_f16_e32 v1, 0x3aee, v38
	v_pack_b32_f16 v21, v21, v37
	v_fmamk_f16 v37, v40, 0xbaee, v2
	v_fmac_f16_e32 v2, 0x3aee, v40
	v_add_f16_e32 v32, v35, v34
	v_add_f16_e32 v33, v51, v44
	v_pack_b32_f16 v0, v0, v10
	v_pack_b32_f16 v1, v1, v22
	;; [unrolled: 1-line block ×9, first 2 shown]
	s_clause 0x14
	global_store_b32 v[6:7], v0, off offset:1540
	global_store_b32 v[6:7], v1, off offset:1760
	global_store_b32 v[6:7], v2, off offset:1980
	global_store_b32 v[6:7], v16, off offset:2200
	global_store_b32 v[6:7], v19, off offset:3080
	global_store_b32 v[6:7], v22, off offset:3300
	global_store_b32 v[6:7], v10, off offset:3520
	global_store_b32 v[6:7], v17, off offset:3740
	global_store_b32 v[4:5], v14, off offset:880
	global_store_b32 v[4:5], v12, off offset:2420
	global_store_b32 v[4:5], v20, off offset:3960
	global_store_b32 v[6:7], v11, off
	global_store_b32 v[6:7], v3, off offset:220
	global_store_b32 v[6:7], v13, off offset:440
	;; [unrolled: 1-line block ×9, first 2 shown]
.LBB0_27:
	s_nop 0
	s_sendmsg sendmsg(MSG_DEALLOC_VGPRS)
	s_endpgm
	.section	.rodata,"a",@progbits
	.p2align	6, 0x0
	.amdhsa_kernel fft_rtc_fwd_len1155_factors_11_5_7_3_wgs_55_tpt_55_halfLds_half_ip_CI_unitstride_sbrr_dirReg
		.amdhsa_group_segment_fixed_size 0
		.amdhsa_private_segment_fixed_size 0
		.amdhsa_kernarg_size 88
		.amdhsa_user_sgpr_count 2
		.amdhsa_user_sgpr_dispatch_ptr 0
		.amdhsa_user_sgpr_queue_ptr 0
		.amdhsa_user_sgpr_kernarg_segment_ptr 1
		.amdhsa_user_sgpr_dispatch_id 0
		.amdhsa_user_sgpr_private_segment_size 0
		.amdhsa_wavefront_size32 1
		.amdhsa_uses_dynamic_stack 0
		.amdhsa_enable_private_segment 0
		.amdhsa_system_sgpr_workgroup_id_x 1
		.amdhsa_system_sgpr_workgroup_id_y 0
		.amdhsa_system_sgpr_workgroup_id_z 0
		.amdhsa_system_sgpr_workgroup_info 0
		.amdhsa_system_vgpr_workitem_id 0
		.amdhsa_next_free_vgpr 99
		.amdhsa_next_free_sgpr 32
		.amdhsa_reserve_vcc 1
		.amdhsa_float_round_mode_32 0
		.amdhsa_float_round_mode_16_64 0
		.amdhsa_float_denorm_mode_32 3
		.amdhsa_float_denorm_mode_16_64 3
		.amdhsa_fp16_overflow 0
		.amdhsa_workgroup_processor_mode 1
		.amdhsa_memory_ordered 1
		.amdhsa_forward_progress 0
		.amdhsa_round_robin_scheduling 0
		.amdhsa_exception_fp_ieee_invalid_op 0
		.amdhsa_exception_fp_denorm_src 0
		.amdhsa_exception_fp_ieee_div_zero 0
		.amdhsa_exception_fp_ieee_overflow 0
		.amdhsa_exception_fp_ieee_underflow 0
		.amdhsa_exception_fp_ieee_inexact 0
		.amdhsa_exception_int_div_zero 0
	.end_amdhsa_kernel
	.text
.Lfunc_end0:
	.size	fft_rtc_fwd_len1155_factors_11_5_7_3_wgs_55_tpt_55_halfLds_half_ip_CI_unitstride_sbrr_dirReg, .Lfunc_end0-fft_rtc_fwd_len1155_factors_11_5_7_3_wgs_55_tpt_55_halfLds_half_ip_CI_unitstride_sbrr_dirReg
                                        ; -- End function
	.section	.AMDGPU.csdata,"",@progbits
; Kernel info:
; codeLenInByte = 15336
; NumSgprs: 34
; NumVgprs: 99
; ScratchSize: 0
; MemoryBound: 0
; FloatMode: 240
; IeeeMode: 1
; LDSByteSize: 0 bytes/workgroup (compile time only)
; SGPRBlocks: 4
; VGPRBlocks: 12
; NumSGPRsForWavesPerEU: 34
; NumVGPRsForWavesPerEU: 99
; Occupancy: 12
; WaveLimiterHint : 1
; COMPUTE_PGM_RSRC2:SCRATCH_EN: 0
; COMPUTE_PGM_RSRC2:USER_SGPR: 2
; COMPUTE_PGM_RSRC2:TRAP_HANDLER: 0
; COMPUTE_PGM_RSRC2:TGID_X_EN: 1
; COMPUTE_PGM_RSRC2:TGID_Y_EN: 0
; COMPUTE_PGM_RSRC2:TGID_Z_EN: 0
; COMPUTE_PGM_RSRC2:TIDIG_COMP_CNT: 0
	.text
	.p2alignl 7, 3214868480
	.fill 96, 4, 3214868480
	.type	__hip_cuid_29ba2122bd15acf5,@object ; @__hip_cuid_29ba2122bd15acf5
	.section	.bss,"aw",@nobits
	.globl	__hip_cuid_29ba2122bd15acf5
__hip_cuid_29ba2122bd15acf5:
	.byte	0                               ; 0x0
	.size	__hip_cuid_29ba2122bd15acf5, 1

	.ident	"AMD clang version 19.0.0git (https://github.com/RadeonOpenCompute/llvm-project roc-6.4.0 25133 c7fe45cf4b819c5991fe208aaa96edf142730f1d)"
	.section	".note.GNU-stack","",@progbits
	.addrsig
	.addrsig_sym __hip_cuid_29ba2122bd15acf5
	.amdgpu_metadata
---
amdhsa.kernels:
  - .args:
      - .actual_access:  read_only
        .address_space:  global
        .offset:         0
        .size:           8
        .value_kind:     global_buffer
      - .offset:         8
        .size:           8
        .value_kind:     by_value
      - .actual_access:  read_only
        .address_space:  global
        .offset:         16
        .size:           8
        .value_kind:     global_buffer
      - .actual_access:  read_only
        .address_space:  global
        .offset:         24
        .size:           8
        .value_kind:     global_buffer
      - .offset:         32
        .size:           8
        .value_kind:     by_value
      - .actual_access:  read_only
        .address_space:  global
        .offset:         40
        .size:           8
        .value_kind:     global_buffer
      - .actual_access:  read_only
        .address_space:  global
        .offset:         48
        .size:           8
        .value_kind:     global_buffer
      - .offset:         56
        .size:           4
        .value_kind:     by_value
      - .actual_access:  read_only
        .address_space:  global
        .offset:         64
        .size:           8
        .value_kind:     global_buffer
      - .actual_access:  read_only
        .address_space:  global
        .offset:         72
        .size:           8
        .value_kind:     global_buffer
      - .address_space:  global
        .offset:         80
        .size:           8
        .value_kind:     global_buffer
    .group_segment_fixed_size: 0
    .kernarg_segment_align: 8
    .kernarg_segment_size: 88
    .language:       OpenCL C
    .language_version:
      - 2
      - 0
    .max_flat_workgroup_size: 55
    .name:           fft_rtc_fwd_len1155_factors_11_5_7_3_wgs_55_tpt_55_halfLds_half_ip_CI_unitstride_sbrr_dirReg
    .private_segment_fixed_size: 0
    .sgpr_count:     34
    .sgpr_spill_count: 0
    .symbol:         fft_rtc_fwd_len1155_factors_11_5_7_3_wgs_55_tpt_55_halfLds_half_ip_CI_unitstride_sbrr_dirReg.kd
    .uniform_work_group_size: 1
    .uses_dynamic_stack: false
    .vgpr_count:     99
    .vgpr_spill_count: 0
    .wavefront_size: 32
    .workgroup_processor_mode: 1
amdhsa.target:   amdgcn-amd-amdhsa--gfx1201
amdhsa.version:
  - 1
  - 2
...

	.end_amdgpu_metadata
